;; amdgpu-corpus repo=ROCm/rocFFT kind=compiled arch=gfx906 opt=O3
	.text
	.amdgcn_target "amdgcn-amd-amdhsa--gfx906"
	.amdhsa_code_object_version 6
	.protected	bluestein_single_back_len99_dim1_dp_op_CI_CI ; -- Begin function bluestein_single_back_len99_dim1_dp_op_CI_CI
	.globl	bluestein_single_back_len99_dim1_dp_op_CI_CI
	.p2align	8
	.type	bluestein_single_back_len99_dim1_dp_op_CI_CI,@function
bluestein_single_back_len99_dim1_dp_op_CI_CI: ; @bluestein_single_back_len99_dim1_dp_op_CI_CI
; %bb.0:
	v_mul_u32_u24_e32 v1, 0x1746, v0
	s_mov_b64 s[46:47], s[2:3]
	s_load_dwordx4 s[16:19], s[4:5], 0x28
	v_lshrrev_b32_e32 v1, 16, v1
	s_mov_b64 s[44:45], s[0:1]
	v_mad_u64_u32 v[144:145], s[0:1], s6, 20, v[1:2]
	v_mov_b32_e32 v145, 0
	s_add_u32 s44, s44, s7
	s_waitcnt lgkmcnt(0)
	v_cmp_gt_u64_e32 vcc, s[16:17], v[144:145]
	s_addc_u32 s45, s45, 0
                                        ; kill: def $vgpr2 killed $sgpr0 killed $exec
	s_and_saveexec_b64 s[0:1], vcc
	s_cbranch_execz .LBB0_10
; %bb.1:
	s_load_dwordx4 s[0:3], s[4:5], 0x18
	s_load_dwordx4 s[12:15], s[4:5], 0x0
	v_mul_lo_u16_e32 v1, 11, v1
	v_sub_u16_e32 v255, v0, v1
	v_mov_b32_e32 v14, 0xfffffc90
	s_waitcnt lgkmcnt(0)
	s_load_dwordx4 s[8:11], s[0:1], 0x0
	v_lshlrev_b32_e32 v40, 4, v255
	s_waitcnt lgkmcnt(0)
	v_mad_u64_u32 v[0:1], s[0:1], s10, v144, 0
	v_mad_u64_u32 v[2:3], s[0:1], s8, v255, 0
	;; [unrolled: 1-line block ×4, first 2 shown]
	v_mov_b32_e32 v1, v4
	v_lshlrev_b64 v[0:1], 4, v[0:1]
	v_mov_b32_e32 v6, s19
	v_mov_b32_e32 v3, v5
	v_add_co_u32_e32 v4, vcc, s18, v0
	v_addc_co_u32_e32 v5, vcc, v6, v1, vcc
	v_lshlrev_b64 v[0:1], 4, v[2:3]
	s_mul_i32 s0, s9, 0x210
	v_add_co_u32_e32 v0, vcc, v4, v0
	s_mul_hi_u32 s1, s8, 0x210
	v_addc_co_u32_e32 v1, vcc, v5, v1, vcc
	s_add_i32 s0, s1, s0
	s_mul_i32 s1, s8, 0x210
	v_mov_b32_e32 v2, s0
	v_add_co_u32_e32 v4, vcc, s1, v0
	v_addc_co_u32_e32 v5, vcc, v1, v2, vcc
	v_mov_b32_e32 v7, s0
	v_add_co_u32_e32 v6, vcc, s1, v4
	v_addc_co_u32_e32 v7, vcc, v5, v7, vcc
	v_mad_u64_u32 v[12:13], s[6:7], s8, v14, v[6:7]
	s_mul_i32 s6, s9, 0xfffffc90
	s_sub_i32 s9, s6, s8
	global_load_dwordx4 v[36:39], v[0:1], off
	v_add_u32_e32 v13, s9, v13
	global_load_dwordx4 v[0:3], v40, s[12:13] offset:528
	global_load_dwordx4 v[41:44], v[4:5], off
	global_load_dwordx4 v[45:48], v[6:7], off
	v_mov_b32_e32 v15, s0
	global_load_dwordx4 v[4:7], v40, s[12:13] offset:1056
	global_load_dwordx4 v[49:52], v[12:13], off
	global_load_dwordx4 v[32:35], v40, s[12:13]
	global_load_dwordx4 v[8:11], v40, s[12:13] offset:176
	v_add_co_u32_e32 v12, vcc, s1, v12
	v_addc_co_u32_e32 v13, vcc, v13, v15, vcc
	global_load_dwordx4 v[53:56], v[12:13], off
	v_add_co_u32_e32 v12, vcc, s1, v12
	v_addc_co_u32_e32 v13, vcc, v13, v15, vcc
	global_load_dwordx4 v[24:27], v40, s[12:13] offset:704
	global_load_dwordx4 v[57:60], v[12:13], off
	global_load_dwordx4 v[20:23], v40, s[12:13] offset:1232
	v_mad_u64_u32 v[14:15], s[6:7], s8, v14, v[12:13]
	v_mov_b32_e32 v12, s0
	v_mov_b32_e32 v30, s0
	v_add_u32_e32 v15, s9, v15
	v_add_co_u32_e32 v28, vcc, s1, v14
	global_load_dwordx4 v[61:64], v[14:15], off
	global_load_dwordx4 v[16:19], v40, s[12:13] offset:352
	v_addc_co_u32_e32 v29, vcc, v15, v12, vcc
	global_load_dwordx4 v[65:68], v[28:29], off
	global_load_dwordx4 v[12:15], v40, s[12:13] offset:880
	v_add_co_u32_e32 v73, vcc, s1, v28
	v_addc_co_u32_e32 v74, vcc, v29, v30, vcc
	global_load_dwordx4 v[28:31], v40, s[12:13] offset:1408
	global_load_dwordx4 v[69:72], v[73:74], off
	s_mov_b32 s0, 0xcccccccd
	v_mul_hi_u32 v73, v144, s0
	s_load_dwordx4 s[8:11], s[2:3], 0x0
	s_mov_b32 s0, 0xe8584caa
	s_mov_b32 s1, 0x3febb67a
	v_lshrrev_b32_e32 v73, 4, v73
	v_mul_lo_u32 v73, v73, 20
	s_mov_b32 s7, 0xbfebb67a
	s_mov_b32 s6, s0
	v_add_co_u32_e32 v89, vcc, 11, v255
	v_sub_u32_e32 v73, v144, v73
	v_mul_u32_u24_e32 v73, 0x63, v73
	v_lshlrev_b32_e32 v221, 4, v73
	v_add_u32_e32 v225, v40, v221
	v_add_co_u32_e32 v90, vcc, 22, v255
	s_movk_i32 s2, 0xab
	v_add_co_u32_e32 v145, vcc, s12, v40
	s_waitcnt vmcnt(15)
	v_mul_f64 v[77:78], v[43:44], v[2:3]
	v_mul_f64 v[79:80], v[41:42], v[2:3]
	s_waitcnt vmcnt(11)
	v_mul_f64 v[73:74], v[38:39], v[34:35]
	v_mul_f64 v[75:76], v[36:37], v[34:35]
	v_mul_f64 v[81:82], v[47:48], v[6:7]
	v_mul_f64 v[83:84], v[45:46], v[6:7]
	s_waitcnt vmcnt(10)
	v_mul_f64 v[85:86], v[51:52], v[10:11]
	v_mul_f64 v[87:88], v[49:50], v[10:11]
	v_fma_f64 v[41:42], v[41:42], v[0:1], v[77:78]
	v_fma_f64 v[43:44], v[43:44], v[0:1], -v[79:80]
	v_fma_f64 v[36:37], v[36:37], v[32:33], v[73:74]
	v_fma_f64 v[38:39], v[38:39], v[32:33], -v[75:76]
	s_waitcnt vmcnt(8)
	v_mul_f64 v[75:76], v[53:54], v[26:27]
	v_mul_f64 v[73:74], v[55:56], v[26:27]
	s_waitcnt vmcnt(6)
	v_mul_f64 v[77:78], v[59:60], v[22:23]
	v_fma_f64 v[45:46], v[45:46], v[4:5], v[81:82]
	v_fma_f64 v[47:48], v[47:48], v[4:5], -v[83:84]
	v_fma_f64 v[49:50], v[49:50], v[8:9], v[85:86]
	v_fma_f64 v[51:52], v[51:52], v[8:9], -v[87:88]
	ds_write_b128 v225, v[36:39]
	v_fma_f64 v[38:39], v[55:56], v[24:25], -v[75:76]
	v_mul_f64 v[55:56], v[57:58], v[22:23]
	v_fma_f64 v[36:37], v[53:54], v[24:25], v[73:74]
	s_waitcnt vmcnt(4)
	v_mul_f64 v[73:74], v[63:64], v[18:19]
	v_mul_f64 v[75:76], v[61:62], v[18:19]
	s_waitcnt vmcnt(2)
	v_mul_f64 v[79:80], v[67:68], v[14:15]
	v_mul_f64 v[81:82], v[65:66], v[14:15]
	v_fma_f64 v[53:54], v[57:58], v[20:21], v[77:78]
	s_waitcnt vmcnt(0)
	v_mul_f64 v[83:84], v[71:72], v[30:31]
	v_mul_f64 v[85:86], v[69:70], v[30:31]
	v_fma_f64 v[55:56], v[59:60], v[20:21], -v[55:56]
	v_fma_f64 v[57:58], v[61:62], v[16:17], v[73:74]
	v_fma_f64 v[59:60], v[63:64], v[16:17], -v[75:76]
	v_fma_f64 v[61:62], v[65:66], v[12:13], v[79:80]
	;; [unrolled: 2-line block ×3, first 2 shown]
	v_fma_f64 v[67:68], v[71:72], v[28:29], -v[85:86]
	ds_write_b128 v225, v[41:44] offset:528
	ds_write_b128 v225, v[45:48] offset:1056
	;; [unrolled: 1-line block ×8, first 2 shown]
	s_waitcnt lgkmcnt(0)
	s_barrier
	ds_read_b128 v[36:39], v225 offset:528
	ds_read_b128 v[41:44], v225 offset:1056
	;; [unrolled: 1-line block ×4, first 2 shown]
	ds_read_b128 v[53:56], v225
	ds_read_b128 v[57:60], v225 offset:176
	s_waitcnt lgkmcnt(4)
	v_add_f64 v[61:62], v[36:37], v[41:42]
	v_add_f64 v[79:80], v[38:39], v[43:44]
	v_add_f64 v[77:78], v[38:39], -v[43:44]
	s_waitcnt lgkmcnt(1)
	v_add_f64 v[73:74], v[53:54], v[36:37]
	v_add_f64 v[38:39], v[55:56], v[38:39]
	v_fma_f64 v[75:76], v[61:62], -0.5, v[53:54]
	ds_read_b128 v[61:64], v225 offset:704
	ds_read_b128 v[65:68], v225 offset:880
	v_fma_f64 v[79:80], v[79:80], -0.5, v[55:56]
	v_add_f64 v[53:54], v[73:74], v[41:42]
	v_add_f64 v[41:42], v[36:37], -v[41:42]
	s_waitcnt lgkmcnt(1)
	v_add_f64 v[81:82], v[61:62], v[45:46]
	v_add_f64 v[85:86], v[63:64], -v[47:48]
	ds_read_b128 v[69:72], v225 offset:1408
	v_add_f64 v[83:84], v[57:58], v[61:62]
	v_add_f64 v[55:56], v[38:39], v[43:44]
	;; [unrolled: 1-line block ×3, first 2 shown]
	v_fma_f64 v[73:74], v[77:78], s[0:1], v[75:76]
	v_fma_f64 v[36:37], v[77:78], s[6:7], v[75:76]
	v_fma_f64 v[81:82], v[81:82], -0.5, v[57:58]
	v_fma_f64 v[75:76], v[41:42], s[6:7], v[79:80]
	v_fma_f64 v[38:39], v[41:42], s[0:1], v[79:80]
	s_waitcnt lgkmcnt(0)
	v_add_f64 v[79:80], v[65:66], v[69:70]
	v_add_f64 v[41:42], v[83:84], v[45:46]
	;; [unrolled: 1-line block ×3, first 2 shown]
	v_fma_f64 v[83:84], v[43:44], -0.5, v[59:60]
	v_add_f64 v[45:46], v[61:62], -v[45:46]
	v_fma_f64 v[57:58], v[85:86], s[0:1], v[81:82]
	v_fma_f64 v[77:78], v[85:86], s[6:7], v[81:82]
	v_add_f64 v[81:82], v[67:68], v[71:72]
	v_add_f64 v[61:62], v[49:50], v[65:66]
	v_fma_f64 v[85:86], v[79:80], -0.5, v[49:50]
	v_add_f64 v[87:88], v[67:68], -v[71:72]
	v_add_f64 v[67:68], v[51:52], v[67:68]
	v_add_f64 v[65:66], v[65:66], -v[69:70]
	v_add_f64 v[43:44], v[63:64], v[47:48]
	v_fma_f64 v[79:80], v[45:46], s[0:1], v[83:84]
	v_fma_f64 v[81:82], v[81:82], -0.5, v[51:52]
	v_fma_f64 v[59:60], v[45:46], s[6:7], v[83:84]
	v_add_f64 v[45:46], v[61:62], v[69:70]
	v_fma_f64 v[61:62], v[87:88], s[6:7], v[85:86]
	v_add_f64 v[47:48], v[67:68], v[71:72]
	v_fma_f64 v[49:50], v[87:88], s[0:1], v[85:86]
	s_barrier
	v_fma_f64 v[63:64], v[65:66], s[0:1], v[81:82]
	v_fma_f64 v[51:52], v[65:66], s[6:7], v[81:82]
	v_mul_lo_u16_e32 v65, 3, v255
	v_lshl_add_u32 v222, v65, 4, v221
	ds_write_b128 v222, v[53:56]
	ds_write_b128 v222, v[73:76] offset:16
	ds_write_b128 v222, v[36:39] offset:32
	v_mul_u32_u24_e32 v36, 3, v89
	v_lshl_add_u32 v36, v36, 4, v221
	ds_write_b128 v36, v[41:44]
	ds_write_b128 v36, v[57:60] offset:16
	buffer_store_dword v36, off, s[44:47], 0 ; 4-byte Folded Spill
	ds_write_b128 v36, v[77:80] offset:32
	v_mul_u32_u24_e32 v36, 3, v90
	v_lshl_add_u32 v36, v36, 4, v221
	ds_write_b128 v36, v[45:48]
	ds_write_b128 v36, v[49:52] offset:16
	buffer_store_dword v36, off, s[44:47], 0 offset:4 ; 4-byte Folded Spill
	ds_write_b128 v36, v[61:64] offset:32
	v_mul_lo_u16_sdwa v36, v255, s2 dst_sel:DWORD dst_unused:UNUSED_PAD src0_sel:BYTE_0 src1_sel:DWORD
	v_lshrrev_b16_e32 v136, 9, v36
	v_mul_lo_u16_e32 v36, 3, v136
	v_sub_u16_e32 v137, v255, v36
	v_lshlrev_b16_e32 v36, 1, v137
	v_and_b32_e32 v36, 0xfe, v36
	v_lshlrev_b32_e32 v41, 4, v36
	s_waitcnt vmcnt(0) lgkmcnt(0)
	s_barrier
	global_load_dwordx4 v[36:39], v41, s[14:15] offset:16
	global_load_dwordx4 v[44:47], v41, s[14:15]
	v_mul_lo_u16_sdwa v41, v89, s2 dst_sel:DWORD dst_unused:UNUSED_PAD src0_sel:BYTE_0 src1_sel:DWORD
	v_lshrrev_b16_e32 v138, 9, v41
	v_mul_lo_u16_e32 v41, 3, v138
	v_sub_u16_e32 v139, v89, v41
	v_lshlrev_b16_e32 v41, 1, v139
	v_and_b32_e32 v41, 0xfe, v41
	v_lshlrev_b32_e32 v41, 4, v41
	global_load_dwordx4 v[52:55], v41, s[14:15] offset:16
	global_load_dwordx4 v[60:63], v41, s[14:15]
	v_mul_lo_u16_sdwa v41, v90, s2 dst_sel:DWORD dst_unused:UNUSED_PAD src0_sel:BYTE_0 src1_sel:DWORD
	v_lshrrev_b16_e32 v140, 9, v41
	v_mul_lo_u16_e32 v41, 3, v140
	v_sub_u16_e32 v141, v90, v41
	v_mov_b32_e32 v41, 5
	v_lshlrev_b32_sdwa v41, v41, v141 dst_sel:DWORD dst_unused:UNUSED_PAD src0_sel:DWORD src1_sel:BYTE_0
	global_load_dwordx4 v[64:67], v41, s[14:15]
	global_load_dwordx4 v[56:59], v41, s[14:15] offset:16
	ds_read_b128 v[48:51], v225 offset:528
	v_mov_b32_e32 v41, s13
	v_addc_co_u32_e32 v146, vcc, 0, v41, vcc
	ds_read_b128 v[40:43], v225 offset:1056
	ds_read_b128 v[68:71], v225 offset:1232
	;; [unrolled: 1-line block ×3, first 2 shown]
	ds_read_b128 v[76:79], v225
	ds_read_b128 v[80:83], v225 offset:176
	ds_read_b128 v[84:87], v225 offset:704
	;; [unrolled: 1-line block ×3, first 2 shown]
	s_load_dwordx2 s[2:3], s[4:5], 0x38
	v_cmp_gt_u16_e32 vcc, 9, v255
	s_waitcnt vmcnt(5) lgkmcnt(0)
	v_mul_f64 v[96:97], v[42:43], v[38:39]
	s_waitcnt vmcnt(4)
	v_mul_f64 v[92:93], v[50:51], v[46:47]
	v_mul_f64 v[94:95], v[48:49], v[46:47]
	;; [unrolled: 1-line block ×3, first 2 shown]
	s_waitcnt vmcnt(3)
	v_mul_f64 v[100:101], v[70:71], v[54:55]
	v_fma_f64 v[48:49], v[48:49], v[44:45], -v[92:93]
	v_fma_f64 v[50:51], v[50:51], v[44:45], v[94:95]
	v_fma_f64 v[92:93], v[40:41], v[36:37], -v[96:97]
	s_waitcnt vmcnt(2)
	v_mul_f64 v[94:95], v[86:87], v[62:63]
	v_mul_f64 v[96:97], v[84:85], v[62:63]
	v_fma_f64 v[98:99], v[42:43], v[36:37], v[98:99]
	v_mul_f64 v[102:103], v[68:69], v[54:55]
	s_waitcnt vmcnt(1)
	v_mul_f64 v[104:105], v[90:91], v[66:67]
	ds_read_b128 v[40:43], v225 offset:1408
	v_mul_f64 v[106:107], v[88:89], v[66:67]
	v_fma_f64 v[68:69], v[68:69], v[52:53], -v[100:101]
	v_fma_f64 v[84:85], v[84:85], v[60:61], -v[94:95]
	v_add_f64 v[94:95], v[48:49], v[92:93]
	v_fma_f64 v[86:87], v[86:87], v[60:61], v[96:97]
	v_fma_f64 v[70:71], v[70:71], v[52:53], v[102:103]
	v_fma_f64 v[88:89], v[88:89], v[64:65], -v[104:105]
	v_add_f64 v[96:97], v[50:51], v[98:99]
	s_waitcnt vmcnt(0) lgkmcnt(0)
	v_mul_f64 v[100:101], v[42:43], v[58:59]
	v_mul_f64 v[102:103], v[40:41], v[58:59]
	v_add_f64 v[104:105], v[76:77], v[48:49]
	v_fma_f64 v[76:77], v[94:95], -0.5, v[76:77]
	v_add_f64 v[94:95], v[50:51], -v[98:99]
	v_add_f64 v[50:51], v[78:79], v[50:51]
	v_fma_f64 v[90:91], v[90:91], v[64:65], v[106:107]
	v_fma_f64 v[78:79], v[96:97], -0.5, v[78:79]
	v_add_f64 v[48:49], v[48:49], -v[92:93]
	v_fma_f64 v[40:41], v[40:41], v[56:57], -v[100:101]
	v_fma_f64 v[42:43], v[42:43], v[56:57], v[102:103]
	v_add_f64 v[108:109], v[104:105], v[92:93]
	v_add_f64 v[92:93], v[84:85], v[68:69]
	v_fma_f64 v[100:101], v[94:95], s[0:1], v[76:77]
	v_fma_f64 v[104:105], v[94:95], s[6:7], v[76:77]
	v_add_f64 v[110:111], v[50:51], v[98:99]
	v_add_f64 v[50:51], v[86:87], v[70:71]
	;; [unrolled: 1-line block ×3, first 2 shown]
	v_fma_f64 v[102:103], v[48:49], s[6:7], v[78:79]
	v_fma_f64 v[106:107], v[48:49], s[0:1], v[78:79]
	v_fma_f64 v[48:49], v[92:93], -0.5, v[80:81]
	v_add_f64 v[78:79], v[88:89], v[40:41]
	v_add_f64 v[80:81], v[86:87], -v[70:71]
	v_add_f64 v[92:93], v[90:91], v[42:43]
	v_add_f64 v[86:87], v[82:83], v[86:87]
	v_fma_f64 v[50:51], v[50:51], -0.5, v[82:83]
	v_add_f64 v[112:113], v[76:77], v[68:69]
	v_add_f64 v[68:69], v[84:85], -v[68:69]
	v_add_f64 v[76:77], v[72:73], v[88:89]
	v_fma_f64 v[72:73], v[78:79], -0.5, v[72:73]
	v_add_f64 v[78:79], v[90:91], -v[42:43]
	v_add_f64 v[82:83], v[74:75], v[90:91]
	v_fma_f64 v[74:75], v[92:93], -0.5, v[74:75]
	v_fma_f64 v[116:117], v[80:81], s[0:1], v[48:49]
	v_fma_f64 v[120:121], v[80:81], s[6:7], v[48:49]
	v_add_f64 v[48:49], v[88:89], -v[40:41]
	v_add_f64 v[114:115], v[86:87], v[70:71]
	v_fma_f64 v[122:123], v[68:69], s[0:1], v[50:51]
	v_fma_f64 v[118:119], v[68:69], s[6:7], v[50:51]
	v_add_f64 v[124:125], v[76:77], v[40:41]
	v_mad_legacy_u16 v40, v136, 9, v137
	v_fma_f64 v[128:129], v[78:79], s[0:1], v[72:73]
	v_fma_f64 v[132:133], v[78:79], s[6:7], v[72:73]
	v_add_f64 v[126:127], v[82:83], v[42:43]
	v_fma_f64 v[130:131], v[48:49], s[6:7], v[74:75]
	v_fma_f64 v[134:135], v[48:49], s[0:1], v[74:75]
	v_and_b32_e32 v40, 0xff, v40
	v_lshl_add_u32 v40, v40, 4, v221
	s_barrier
	ds_write_b128 v40, v[108:111]
	ds_write_b128 v40, v[100:103] offset:48
	buffer_store_dword v40, off, s[44:47], 0 offset:8 ; 4-byte Folded Spill
	ds_write_b128 v40, v[104:107] offset:96
	v_mad_legacy_u16 v40, v138, 9, v139
	v_and_b32_e32 v40, 0xff, v40
	v_lshl_add_u32 v40, v40, 4, v221
	ds_write_b128 v40, v[112:115]
	ds_write_b128 v40, v[116:119] offset:48
	buffer_store_dword v40, off, s[44:47], 0 offset:12 ; 4-byte Folded Spill
	ds_write_b128 v40, v[120:123] offset:96
	v_mul_u32_u24_e32 v40, 9, v140
	v_add_u32_sdwa v40, v40, v141 dst_sel:DWORD dst_unused:UNUSED_PAD src0_sel:DWORD src1_sel:BYTE_0
	v_lshl_add_u32 v226, v40, 4, v221
	ds_write_b128 v226, v[124:127]
	ds_write_b128 v226, v[128:131] offset:48
	ds_write_b128 v226, v[132:135] offset:96
	s_waitcnt vmcnt(0) lgkmcnt(0)
	s_barrier
	s_waitcnt lgkmcnt(0)
                                        ; implicit-def: $vgpr136_vgpr137
                                        ; implicit-def: $vgpr140_vgpr141
	s_and_saveexec_b64 s[0:1], vcc
	s_cbranch_execz .LBB0_3
; %bb.2:
	ds_read_b128 v[108:111], v225
	ds_read_b128 v[100:103], v225 offset:144
	ds_read_b128 v[104:107], v225 offset:288
	ds_read_b128 v[112:115], v225 offset:432
	ds_read_b128 v[116:119], v225 offset:576
	ds_read_b128 v[120:123], v225 offset:720
	ds_read_b128 v[124:127], v225 offset:864
	ds_read_b128 v[128:131], v225 offset:1008
	ds_read_b128 v[132:135], v225 offset:1152
	ds_read_b128 v[136:139], v225 offset:1296
	ds_read_b128 v[140:143], v225 offset:1440
.LBB0_3:
	s_or_b64 exec, exec, s[0:1]
	v_add_u32_e32 v40, -9, v255
	v_cndmask_b32_e32 v40, v40, v255, vcc
	v_mul_hi_i32_i24_e32 v41, 0xa0, v40
	v_mul_i32_i24_e32 v40, 0xa0, v40
	v_mov_b32_e32 v42, s15
	v_add_co_u32_e64 v76, s[0:1], s14, v40
	v_addc_co_u32_e64 v77, s[0:1], v42, v41, s[0:1]
	global_load_dwordx4 v[48:51], v[76:77], off offset:96
	global_load_dwordx4 v[40:43], v[76:77], off offset:112
	;; [unrolled: 1-line block ×9, first 2 shown]
	s_nop 0
	global_load_dwordx4 v[76:79], v[76:77], off offset:224
	s_mov_b32 s14, 0xf8bb580b
	s_mov_b32 s28, 0x8eee2c13
	;; [unrolled: 1-line block ×26, first 2 shown]
	s_waitcnt vmcnt(9) lgkmcnt(9)
	v_mul_f64 v[147:148], v[102:103], v[50:51]
	v_mul_f64 v[149:150], v[100:101], v[50:51]
	s_waitcnt vmcnt(8) lgkmcnt(8)
	v_mul_f64 v[151:152], v[106:107], v[42:43]
	v_mul_f64 v[153:154], v[104:105], v[42:43]
	s_waitcnt vmcnt(7) lgkmcnt(7)
	v_mul_f64 v[165:166], v[114:115], v[70:71]
	s_waitcnt vmcnt(5) lgkmcnt(5)
	;; [unrolled: 2-line block ×5, first 2 shown]
	v_mul_f64 v[159:160], v[140:141], v[82:83]
	v_mul_f64 v[189:190], v[142:143], v[82:83]
	s_waitcnt vmcnt(0)
	v_mul_f64 v[191:192], v[136:137], v[78:79]
	v_mul_f64 v[193:194], v[138:139], v[78:79]
	v_fma_f64 v[157:158], v[100:101], v[48:49], -v[147:148]
	v_fma_f64 v[161:162], v[102:103], v[48:49], v[149:150]
	v_mul_f64 v[167:168], v[112:113], v[70:71]
	v_mul_f64 v[169:170], v[118:119], v[74:75]
	v_fma_f64 v[159:160], v[142:143], v[80:81], v[159:160]
	v_fma_f64 v[140:141], v[140:141], v[80:81], -v[189:190]
	v_mul_f64 v[171:172], v[116:117], v[74:75]
	v_mul_f64 v[175:176], v[120:121], v[98:99]
	;; [unrolled: 1-line block ×6, first 2 shown]
	v_fma_f64 v[155:156], v[104:105], v[40:41], -v[151:152]
	v_fma_f64 v[163:164], v[106:107], v[40:41], v[153:154]
	v_fma_f64 v[153:154], v[112:113], v[68:69], -v[165:166]
	v_fma_f64 v[165:166], v[138:139], v[76:77], v[191:192]
	v_fma_f64 v[149:150], v[120:121], v[96:97], -v[173:174]
	v_fma_f64 v[136:137], v[136:137], v[76:77], -v[193:194]
	v_fma_f64 v[173:174], v[134:135], v[84:85], v[187:188]
	v_fma_f64 v[142:143], v[128:129], v[88:89], -v[181:182]
	v_add_f64 v[128:129], v[161:162], -v[159:160]
	v_add_f64 v[134:135], v[157:158], -v[140:141]
	v_fma_f64 v[167:168], v[114:115], v[68:69], v[167:168]
	v_fma_f64 v[151:152], v[116:117], v[72:73], -v[169:170]
	v_fma_f64 v[169:170], v[118:119], v[72:73], v[171:172]
	v_fma_f64 v[171:172], v[122:123], v[96:97], v[175:176]
	v_fma_f64 v[147:148], v[124:125], v[92:93], -v[177:178]
	v_fma_f64 v[175:176], v[126:127], v[92:93], v[179:180]
	v_fma_f64 v[138:139], v[132:133], v[84:85], -v[185:186]
	v_fma_f64 v[177:178], v[130:131], v[88:89], v[183:184]
	v_add_f64 v[132:133], v[157:158], v[140:141]
	v_add_f64 v[251:252], v[163:164], -v[165:166]
	v_add_f64 v[130:131], v[161:162], v[159:160]
	v_add_f64 v[233:234], v[155:156], -v[136:137]
	v_mul_f64 v[179:180], v[128:129], s[14:15]
	v_mul_f64 v[187:188], v[134:135], s[14:15]
	;; [unrolled: 1-line block ×4, first 2 shown]
	v_add_f64 v[197:198], v[155:156], v[136:137]
	v_add_f64 v[239:240], v[163:164], v[165:166]
	v_add_f64 v[247:248], v[167:168], -v[173:174]
	v_add_f64 v[241:242], v[153:154], -v[138:139]
	v_mul_f64 v[181:182], v[251:252], s[28:29]
	v_mul_f64 v[189:190], v[233:234], s[28:29]
	v_mul_f64 v[199:200], v[251:252], s[24:25]
	v_mul_f64 v[211:212], v[233:234], s[24:25]
	v_fma_f64 v[100:101], v[132:133], s[4:5], v[179:180]
	v_fma_f64 v[102:103], v[130:131], s[4:5], -v[187:188]
	v_fma_f64 v[112:113], v[132:133], s[6:7], v[195:196]
	v_fma_f64 v[114:115], v[130:131], s[6:7], -v[209:210]
	v_add_f64 v[201:202], v[153:154], v[138:139]
	v_add_f64 v[235:236], v[167:168], v[173:174]
	v_add_f64 v[245:246], v[169:170], -v[177:178]
	v_add_f64 v[249:250], v[151:152], -v[142:143]
	v_mul_f64 v[183:184], v[247:248], s[20:21]
	v_mul_f64 v[191:192], v[241:242], s[20:21]
	;; [unrolled: 1-line block ×4, first 2 shown]
	v_fma_f64 v[104:105], v[197:198], s[6:7], v[181:182]
	v_fma_f64 v[106:107], v[239:240], s[6:7], -v[189:190]
	v_add_f64 v[100:101], v[108:109], v[100:101]
	v_add_f64 v[102:103], v[110:111], v[102:103]
	v_fma_f64 v[120:121], v[197:198], s[18:19], v[199:200]
	v_fma_f64 v[122:123], v[239:240], s[18:19], -v[211:212]
	v_add_f64 v[112:113], v[108:109], v[112:113]
	v_add_f64 v[114:115], v[110:111], v[114:115]
	;; [unrolled: 1-line block ×4, first 2 shown]
	v_add_f64 v[243:244], v[171:172], -v[175:176]
	v_add_f64 v[253:254], v[149:150], -v[147:148]
	v_mul_f64 v[185:186], v[245:246], s[24:25]
	v_mul_f64 v[193:194], v[249:250], s[24:25]
	;; [unrolled: 1-line block ×4, first 2 shown]
	v_fma_f64 v[116:117], v[201:202], s[16:17], v[183:184]
	v_fma_f64 v[118:119], v[235:236], s[16:17], -v[191:192]
	v_add_f64 v[100:101], v[104:105], v[100:101]
	v_add_f64 v[102:103], v[106:107], v[102:103]
	v_fma_f64 v[124:125], v[201:202], s[22:23], v[203:204]
	v_fma_f64 v[126:127], v[235:236], s[22:23], -v[213:214]
	v_add_f64 v[112:113], v[120:121], v[112:113]
	v_add_f64 v[114:115], v[122:123], v[114:115]
	;; [unrolled: 4-line block ×3, first 2 shown]
	v_add_f64 v[227:228], v[149:150], v[147:148]
	v_mul_f64 v[215:216], v[243:244], s[34:35]
	v_add_f64 v[229:230], v[171:172], v[175:176]
	v_mul_f64 v[219:220], v[253:254], s[34:35]
	v_add_f64 v[112:113], v[124:125], v[112:113]
	v_add_f64 v[114:115], v[126:127], v[114:115]
	v_fma_f64 v[116:117], v[205:206], s[16:17], v[207:208]
	v_fma_f64 v[118:119], v[231:232], s[16:17], -v[217:218]
	v_mul_f64 v[223:224], v[243:244], s[38:39]
	v_mul_f64 v[237:238], v[253:254], s[38:39]
	v_add_f64 v[100:101], v[104:105], v[100:101]
	v_add_f64 v[102:103], v[106:107], v[102:103]
	v_fma_f64 v[104:105], v[227:228], s[22:23], v[215:216]
	v_fma_f64 v[106:107], v[229:230], s[22:23], -v[219:220]
	v_add_f64 v[112:113], v[116:117], v[112:113]
	v_add_f64 v[114:115], v[118:119], v[114:115]
	v_fma_f64 v[116:117], v[227:228], s[4:5], v[223:224]
	v_fma_f64 v[118:119], v[229:230], s[4:5], -v[237:238]
	v_add_f64 v[104:105], v[104:105], v[100:101]
	v_add_f64 v[106:107], v[106:107], v[102:103]
	v_add_f64 v[100:101], v[116:117], v[112:113]
	v_add_f64 v[102:103], v[118:119], v[114:115]
	s_and_saveexec_b64 s[0:1], vcc
	s_cbranch_execz .LBB0_5
; %bb.4:
	v_mul_f64 v[112:113], v[132:133], s[4:5]
	v_mul_f64 v[124:125], v[239:240], s[4:5]
	;; [unrolled: 1-line block ×3, first 2 shown]
	s_mov_b32 s41, 0x3fe82f19
	s_mov_b32 s40, s24
	v_mul_f64 v[118:119], v[231:232], s[6:7]
	v_mul_f64 v[116:117], v[229:230], s[16:17]
	s_mov_b32 s37, 0x3fed1bb4
	buffer_store_dword v112, off, s[44:47], 0 offset:72 ; 4-byte Folded Spill
	s_nop 0
	buffer_store_dword v113, off, s[44:47], 0 offset:76 ; 4-byte Folded Spill
	v_mul_f64 v[112:113], v[130:131], s[4:5]
	v_fma_f64 v[126:127], v[233:234], s[14:15], v[124:125]
	v_fma_f64 v[122:123], v[241:242], s[40:41], v[120:121]
	s_mov_b32 s36, s28
	v_fma_f64 v[114:115], v[249:250], s[28:29], v[118:119]
	buffer_store_dword v112, off, s[44:47], 0 offset:96 ; 4-byte Folded Spill
	s_nop 0
	buffer_store_dword v113, off, s[44:47], 0 offset:100 ; 4-byte Folded Spill
	v_mul_f64 v[112:113], v[132:133], s[6:7]
	buffer_store_dword v112, off, s[44:47], 0 offset:136 ; 4-byte Folded Spill
	s_nop 0
	buffer_store_dword v113, off, s[44:47], 0 offset:140 ; 4-byte Folded Spill
	v_mul_f64 v[112:113], v[130:131], s[6:7]
	;; [unrolled: 4-line block ×18, first 2 shown]
	buffer_store_dword v112, off, s[44:47], 0 offset:224 ; 4-byte Folded Spill
	s_nop 0
	buffer_store_dword v113, off, s[44:47], 0 offset:228 ; 4-byte Folded Spill
	buffer_store_dword v221, off, s[44:47], 0 offset:16 ; 4-byte Folded Spill
	;; [unrolled: 1-line block ×3, first 2 shown]
	v_mul_f64 v[221:222], v[130:131], s[22:23]
	buffer_store_dword v140, off, s[44:47], 0 offset:24 ; 4-byte Folded Spill
	s_nop 0
	buffer_store_dword v141, off, s[44:47], 0 offset:28 ; 4-byte Folded Spill
	buffer_store_dword v189, off, s[44:47], 0 offset:248 ; 4-byte Folded Spill
	s_nop 0
	buffer_store_dword v190, off, s[44:47], 0 offset:252 ; 4-byte Folded Spill
	;; [unrolled: 3-line block ×7, first 2 shown]
	v_fma_f64 v[140:141], v[134:135], s[26:27], v[221:222]
	v_fma_f64 v[112:113], v[253:254], s[30:31], v[116:117]
	v_mul_f64 v[185:186], v[128:129], s[34:35]
	v_mul_f64 v[136:137], v[251:252], s[38:39]
	;; [unrolled: 1-line block ×3, first 2 shown]
	buffer_store_dword v187, off, s[44:47], 0 offset:272 ; 4-byte Folded Spill
	s_nop 0
	buffer_store_dword v188, off, s[44:47], 0 offset:276 ; 4-byte Folded Spill
	v_add_f64 v[140:141], v[110:111], v[140:141]
	v_fma_f64 v[183:184], v[197:198], s[4:5], v[136:137]
	v_fma_f64 v[181:182], v[201:202], s[18:19], v[179:180]
	v_add_f64 v[126:127], v[126:127], v[140:141]
	v_add_f64 v[122:123], v[122:123], v[126:127]
	v_mul_f64 v[126:127], v[245:246], s[36:37]
	v_add_f64 v[114:115], v[114:115], v[122:123]
	v_mul_f64 v[122:123], v[243:244], s[20:21]
	v_fma_f64 v[140:141], v[205:206], s[6:7], v[126:127]
	v_add_f64 v[189:190], v[112:113], v[114:115]
	v_fma_f64 v[114:115], v[132:133], s[22:23], v[185:186]
	v_fma_f64 v[112:113], v[227:228], s[16:17], v[122:123]
	v_add_f64 v[114:115], v[108:109], v[114:115]
	v_add_f64 v[114:115], v[183:184], v[114:115]
	v_mul_f64 v[183:184], v[247:248], s[14:15]
	v_add_f64 v[114:115], v[181:182], v[114:115]
	v_add_f64 v[114:115], v[140:141], v[114:115]
	;; [unrolled: 1-line block ×3, first 2 shown]
	v_fma_f64 v[112:113], v[253:254], s[20:21], v[116:117]
	v_fma_f64 v[116:117], v[241:242], s[24:25], v[120:121]
	;; [unrolled: 1-line block ×5, first 2 shown]
	buffer_store_dword v187, off, s[44:47], 0 offset:40 ; 4-byte Folded Spill
	s_nop 0
	buffer_store_dword v188, off, s[44:47], 0 offset:44 ; 4-byte Folded Spill
	buffer_store_dword v189, off, s[44:47], 0 offset:48 ; 4-byte Folded Spill
	;; [unrolled: 1-line block ×3, first 2 shown]
	v_mul_f64 v[189:190], v[128:129], s[24:25]
	v_mul_f64 v[124:125], v[231:232], s[22:23]
	v_add_f64 v[120:121], v[110:111], v[120:121]
	v_mul_f64 v[221:222], v[251:252], s[30:31]
	v_add_f64 v[118:119], v[118:119], v[120:121]
	v_fma_f64 v[120:121], v[197:198], s[4:5], -v[136:137]
	v_mul_f64 v[136:137], v[239:240], s[16:17]
	v_fma_f64 v[187:188], v[197:198], s[16:17], v[221:222]
	v_add_f64 v[116:117], v[116:117], v[118:119]
	v_fma_f64 v[140:141], v[233:234], s[20:21], v[136:137]
	v_add_f64 v[114:115], v[114:115], v[116:117]
	v_fma_f64 v[116:117], v[201:202], s[18:19], -v[179:180]
	v_mul_f64 v[179:180], v[130:131], s[18:19]
	v_add_f64 v[118:119], v[112:113], v[114:115]
	v_fma_f64 v[112:113], v[227:228], s[16:17], -v[122:123]
	v_fma_f64 v[122:123], v[132:133], s[22:23], -v[185:186]
	;; [unrolled: 1-line block ×3, first 2 shown]
	v_fma_f64 v[181:182], v[134:135], s[40:41], v[179:180]
	v_mul_f64 v[126:127], v[235:236], s[4:5]
	v_fma_f64 v[185:186], v[201:202], s[4:5], v[183:184]
	v_add_f64 v[122:123], v[108:109], v[122:123]
	v_add_f64 v[181:182], v[110:111], v[181:182]
	;; [unrolled: 1-line block ×3, first 2 shown]
	v_fma_f64 v[122:123], v[241:242], s[38:39], v[126:127]
	v_add_f64 v[140:141], v[140:141], v[181:182]
	v_add_f64 v[116:117], v[116:117], v[120:121]
	v_fma_f64 v[120:121], v[249:250], s[26:27], v[124:125]
	v_add_f64 v[122:123], v[122:123], v[140:141]
	v_mul_f64 v[140:141], v[245:246], s[34:35]
	v_add_f64 v[114:115], v[114:115], v[116:117]
	v_add_f64 v[120:121], v[120:121], v[122:123]
	v_fma_f64 v[181:182], v[205:206], s[22:23], v[140:141]
	v_add_f64 v[116:117], v[112:113], v[114:115]
	buffer_store_dword v116, off, s[44:47], 0 offset:56 ; 4-byte Folded Spill
	s_nop 0
	buffer_store_dword v117, off, s[44:47], 0 offset:60 ; 4-byte Folded Spill
	buffer_store_dword v118, off, s[44:47], 0 offset:64 ; 4-byte Folded Spill
	;; [unrolled: 1-line block ×3, first 2 shown]
	v_fma_f64 v[116:117], v[132:133], s[18:19], v[189:190]
	v_mul_f64 v[112:113], v[229:230], s[6:7]
	v_fma_f64 v[118:119], v[241:242], s[14:15], v[126:127]
	v_fma_f64 v[126:127], v[134:135], s[24:25], v[179:180]
	v_mul_f64 v[179:180], v[239:240], s[22:23]
	v_add_f64 v[116:117], v[108:109], v[116:117]
	v_fma_f64 v[114:115], v[253:254], s[28:29], v[112:113]
	v_fma_f64 v[112:113], v[253:254], s[36:37], v[112:113]
	v_add_f64 v[126:127], v[110:111], v[126:127]
	v_add_f64 v[116:117], v[187:188], v[116:117]
	;; [unrolled: 1-line block ×3, first 2 shown]
	v_mul_f64 v[114:115], v[243:244], s[36:37]
	v_add_f64 v[116:117], v[185:186], v[116:117]
	v_mul_f64 v[185:186], v[247:248], s[36:37]
	v_fma_f64 v[120:121], v[227:228], s[6:7], v[114:115]
	v_add_f64 v[116:117], v[181:182], v[116:117]
	v_fma_f64 v[181:182], v[233:234], s[34:35], v[179:180]
	v_fma_f64 v[187:188], v[201:202], s[6:7], v[185:186]
	v_add_f64 v[120:121], v[120:121], v[116:117]
	v_fma_f64 v[116:117], v[249:250], s[34:35], v[124:125]
	v_fma_f64 v[124:125], v[233:234], s[30:31], v[136:137]
	v_mul_f64 v[136:137], v[235:236], s[6:7]
	v_add_f64 v[124:125], v[124:125], v[126:127]
	v_add_f64 v[118:119], v[118:119], v[124:125]
	v_fma_f64 v[124:125], v[132:133], s[18:19], -v[189:190]
	v_mul_f64 v[189:190], v[251:252], s[26:27]
	v_add_f64 v[116:117], v[116:117], v[118:119]
	v_fma_f64 v[118:119], v[197:198], s[16:17], -v[221:222]
	v_add_f64 v[124:125], v[108:109], v[124:125]
	v_fma_f64 v[221:222], v[197:198], s[22:23], v[189:190]
	v_add_f64 v[126:127], v[112:113], v[116:117]
	v_fma_f64 v[116:117], v[201:202], s[4:5], -v[183:184]
	v_add_f64 v[118:119], v[118:119], v[124:125]
	v_fma_f64 v[112:113], v[227:228], s[6:7], -v[114:115]
	v_fma_f64 v[114:115], v[205:206], s[22:23], -v[140:141]
	v_mul_f64 v[183:184], v[130:131], s[16:17]
	v_fma_f64 v[140:141], v[241:242], s[28:29], v[136:137]
	v_add_f64 v[116:117], v[116:117], v[118:119]
	v_fma_f64 v[130:131], v[134:135], s[30:31], v[183:184]
	v_fma_f64 v[134:135], v[134:135], s[20:21], v[183:184]
	v_add_f64 v[114:115], v[114:115], v[116:117]
	v_mul_f64 v[116:117], v[231:232], s[4:5]
	v_add_f64 v[130:131], v[110:111], v[130:131]
	v_add_f64 v[134:135], v[110:111], v[134:135]
	;; [unrolled: 1-line block ×3, first 2 shown]
	v_mul_f64 v[112:113], v[229:230], s[18:19]
	v_mul_f64 v[229:230], v[128:129], s[20:21]
	v_add_f64 v[130:131], v[181:182], v[130:131]
	v_fma_f64 v[118:119], v[249:250], s[38:39], v[116:117]
	v_fma_f64 v[116:117], v[249:250], s[14:15], v[116:117]
	;; [unrolled: 1-line block ×4, first 2 shown]
	v_add_f64 v[130:131], v[140:141], v[130:131]
	v_mul_f64 v[140:141], v[245:246], s[14:15]
	v_fma_f64 v[132:133], v[132:133], s[16:17], -v[229:230]
	v_fma_f64 v[112:113], v[253:254], s[24:25], v[112:113]
	v_add_f64 v[128:129], v[108:109], v[128:129]
	v_add_f64 v[118:119], v[118:119], v[130:131]
	v_fma_f64 v[181:182], v[205:206], s[4:5], v[140:141]
	v_add_f64 v[132:133], v[108:109], v[132:133]
	v_add_f64 v[128:129], v[221:222], v[128:129]
	;; [unrolled: 1-line block ×3, first 2 shown]
	v_mul_f64 v[114:115], v[243:244], s[24:25]
	buffer_load_dword v222, off, s[44:47], 0 offset:20 ; 4-byte Folded Reload
	buffer_load_dword v221, off, s[44:47], 0 offset:16 ; 4-byte Folded Reload
	v_add_f64 v[128:129], v[187:188], v[128:129]
	v_fma_f64 v[118:119], v[227:228], s[18:19], v[114:115]
	v_add_f64 v[128:129], v[181:182], v[128:129]
	v_add_f64 v[128:129], v[118:119], v[128:129]
	v_fma_f64 v[118:119], v[241:242], s[36:37], v[136:137]
	v_fma_f64 v[136:137], v[233:234], s[26:27], v[179:180]
	v_add_f64 v[134:135], v[136:137], v[134:135]
	v_add_f64 v[118:119], v[118:119], v[134:135]
	;; [unrolled: 1-line block ×3, first 2 shown]
	v_fma_f64 v[118:119], v[197:198], s[22:23], -v[189:190]
	v_add_f64 v[134:135], v[112:113], v[116:117]
	v_fma_f64 v[116:117], v[201:202], s[6:7], -v[185:186]
	v_add_f64 v[118:119], v[118:119], v[132:133]
	v_fma_f64 v[112:113], v[227:228], s[18:19], -v[114:115]
	v_fma_f64 v[114:115], v[205:206], s[4:5], -v[140:141]
	v_add_f64 v[116:117], v[116:117], v[118:119]
	v_add_f64 v[114:115], v[114:115], v[116:117]
	;; [unrolled: 1-line block ×3, first 2 shown]
	buffer_load_dword v112, off, s[44:47], 0 offset:224 ; 4-byte Folded Reload
	buffer_load_dword v113, off, s[44:47], 0 offset:228 ; 4-byte Folded Reload
	;; [unrolled: 1-line block ×10, first 2 shown]
	s_waitcnt vmcnt(8)
	v_add_f64 v[112:113], v[237:238], v[112:113]
	s_waitcnt vmcnt(6)
	v_add_f64 v[114:115], v[217:218], v[114:115]
	;; [unrolled: 2-line block ×5, first 2 shown]
	v_add_f64 v[136:137], v[110:111], v[136:137]
	v_add_f64 v[118:119], v[118:119], v[136:137]
	;; [unrolled: 1-line block ×5, first 2 shown]
	buffer_load_dword v112, off, s[44:47], 0 offset:200 ; 4-byte Folded Reload
	buffer_load_dword v113, off, s[44:47], 0 offset:204 ; 4-byte Folded Reload
	;; [unrolled: 1-line block ×10, first 2 shown]
	s_waitcnt vmcnt(8)
	v_add_f64 v[112:113], v[112:113], -v[223:224]
	s_waitcnt vmcnt(6)
	v_add_f64 v[114:115], v[114:115], -v[207:208]
	;; [unrolled: 2-line block ×5, first 2 shown]
	v_add_f64 v[136:137], v[108:109], v[136:137]
	v_add_f64 v[118:119], v[118:119], v[136:137]
	;; [unrolled: 1-line block ×5, first 2 shown]
	buffer_load_dword v112, off, s[44:47], 0 offset:160 ; 4-byte Folded Reload
	buffer_load_dword v113, off, s[44:47], 0 offset:164 ; 4-byte Folded Reload
	;; [unrolled: 1-line block ×10, first 2 shown]
	s_waitcnt vmcnt(8)
	v_add_f64 v[112:113], v[219:220], v[112:113]
	s_waitcnt vmcnt(6)
	v_add_f64 v[114:115], v[193:194], v[114:115]
	;; [unrolled: 2-line block ×4, first 2 shown]
	buffer_load_dword v136, off, s[44:47], 0 offset:96 ; 4-byte Folded Reload
	buffer_load_dword v137, off, s[44:47], 0 offset:100 ; 4-byte Folded Reload
	;; [unrolled: 1-line block ×4, first 2 shown]
	s_waitcnt vmcnt(0)
	v_add_f64 v[136:137], v[140:141], v[136:137]
	v_add_f64 v[136:137], v[110:111], v[136:137]
	;; [unrolled: 1-line block ×10, first 2 shown]
	buffer_load_dword v112, off, s[44:47], 0 offset:120 ; 4-byte Folded Reload
	buffer_load_dword v113, off, s[44:47], 0 offset:124 ; 4-byte Folded Reload
	;; [unrolled: 1-line block ×6, first 2 shown]
	v_add_f64 v[110:111], v[110:111], v[171:172]
	v_add_f64 v[110:111], v[110:111], v[175:176]
	;; [unrolled: 1-line block ×6, first 2 shown]
	s_waitcnt vmcnt(4)
	v_add_f64 v[112:113], v[112:113], -v[215:216]
	s_waitcnt vmcnt(0)
	v_add_f64 v[114:115], v[114:115], -v[116:117]
	buffer_load_dword v116, off, s[44:47], 0 offset:88 ; 4-byte Folded Reload
	buffer_load_dword v117, off, s[44:47], 0 offset:92 ; 4-byte Folded Reload
	buffer_load_dword v118, off, s[44:47], 0 offset:256 ; 4-byte Folded Reload
	buffer_load_dword v119, off, s[44:47], 0 offset:260 ; 4-byte Folded Reload
	s_waitcnt vmcnt(0)
	v_add_f64 v[116:117], v[116:117], -v[118:119]
	buffer_load_dword v118, off, s[44:47], 0 offset:80 ; 4-byte Folded Reload
	buffer_load_dword v119, off, s[44:47], 0 offset:84 ; 4-byte Folded Reload
	buffer_load_dword v136, off, s[44:47], 0 offset:240 ; 4-byte Folded Reload
	buffer_load_dword v137, off, s[44:47], 0 offset:244 ; 4-byte Folded Reload
	;; [unrolled: 6-line block ×3, first 2 shown]
	s_waitcnt vmcnt(0)
	v_add_f64 v[136:137], v[136:137], -v[140:141]
	v_add_f64 v[136:137], v[108:109], v[136:137]
	v_add_f64 v[108:109], v[108:109], v[157:158]
	v_add_f64 v[118:119], v[118:119], v[136:137]
	v_add_f64 v[108:109], v[108:109], v[155:156]
	v_add_f64 v[116:117], v[116:117], v[118:119]
	v_add_f64 v[108:109], v[108:109], v[153:154]
	v_add_f64 v[114:115], v[114:115], v[116:117]
	v_add_f64 v[108:109], v[108:109], v[151:152]
	v_add_f64 v[185:186], v[112:113], v[114:115]
	buffer_load_dword v112, off, s[44:47], 0 offset:32 ; 4-byte Folded Reload
	buffer_load_dword v113, off, s[44:47], 0 offset:36 ; 4-byte Folded Reload
	v_add_f64 v[108:109], v[108:109], v[149:150]
	v_add_f64 v[108:109], v[108:109], v[147:148]
	;; [unrolled: 1-line block ×4, first 2 shown]
	s_waitcnt vmcnt(0)
	v_add_f64 v[108:109], v[108:109], v[112:113]
	buffer_load_dword v112, off, s[44:47], 0 offset:24 ; 4-byte Folded Reload
	buffer_load_dword v113, off, s[44:47], 0 offset:28 ; 4-byte Folded Reload
	s_waitcnt vmcnt(0)
	v_add_f64 v[108:109], v[108:109], v[112:113]
	ds_write_b128 v225, v[108:111]
	v_lshl_add_u32 v108, v255, 4, v221
	ds_write_b128 v108, v[185:188] offset:144
	ds_write_b128 v108, v[195:198] offset:288
	;; [unrolled: 1-line block ×4, first 2 shown]
	buffer_load_dword v109, off, s[44:47], 0 offset:56 ; 4-byte Folded Reload
	buffer_load_dword v110, off, s[44:47], 0 offset:60 ; 4-byte Folded Reload
	;; [unrolled: 1-line block ×4, first 2 shown]
	s_waitcnt vmcnt(0)
	ds_write_b128 v108, v[109:112] offset:720
	buffer_load_dword v109, off, s[44:47], 0 offset:40 ; 4-byte Folded Reload
	buffer_load_dword v110, off, s[44:47], 0 offset:44 ; 4-byte Folded Reload
	;; [unrolled: 1-line block ×4, first 2 shown]
	s_waitcnt vmcnt(0)
	ds_write_b128 v108, v[109:112] offset:864
	ds_write_b128 v108, v[120:123] offset:1008
	;; [unrolled: 1-line block ×5, first 2 shown]
.LBB0_5:
	s_or_b64 exec, exec, s[0:1]
	s_waitcnt lgkmcnt(0)
	s_barrier
	global_load_dwordx4 v[108:111], v[145:146], off offset:1584
	s_add_u32 s0, s12, 0x630
	s_addc_u32 s1, s13, 0
	v_lshlrev_b32_e32 v140, 4, v255
	global_load_dwordx4 v[112:115], v140, s[0:1] offset:528
	global_load_dwordx4 v[116:119], v140, s[0:1] offset:1056
	global_load_dwordx4 v[120:123], v140, s[0:1] offset:176
	global_load_dwordx4 v[124:127], v140, s[0:1] offset:704
	global_load_dwordx4 v[128:131], v140, s[0:1] offset:1232
	global_load_dwordx4 v[132:135], v140, s[0:1] offset:352
	global_load_dwordx4 v[136:139], v140, s[0:1] offset:880
	s_nop 0
	global_load_dwordx4 v[140:143], v140, s[0:1] offset:1408
	ds_read_b128 v[145:148], v225
	ds_read_b128 v[149:152], v225 offset:176
	ds_read_b128 v[153:156], v225 offset:1056
	;; [unrolled: 1-line block ×8, first 2 shown]
	s_mov_b32 s0, 0xe8584caa
	s_mov_b32 s1, 0xbfebb67a
	;; [unrolled: 1-line block ×4, first 2 shown]
	s_waitcnt vmcnt(7) lgkmcnt(4)
	v_mul_f64 v[183:184], v[163:164], v[114:115]
	v_mul_f64 v[114:115], v[161:162], v[114:115]
	s_waitcnt vmcnt(6)
	v_mul_f64 v[185:186], v[155:156], v[118:119]
	v_mul_f64 v[181:182], v[147:148], v[110:111]
	;; [unrolled: 1-line block ×4, first 2 shown]
	s_waitcnt vmcnt(5)
	v_mul_f64 v[187:188], v[151:152], v[122:123]
	v_mul_f64 v[122:123], v[149:150], v[122:123]
	s_waitcnt vmcnt(4) lgkmcnt(2)
	v_mul_f64 v[189:190], v[171:172], v[126:127]
	v_mul_f64 v[126:127], v[169:170], v[126:127]
	s_waitcnt vmcnt(3)
	v_mul_f64 v[191:192], v[159:160], v[130:131]
	v_mul_f64 v[130:131], v[157:158], v[130:131]
	s_waitcnt vmcnt(2)
	v_mul_f64 v[193:194], v[167:168], v[134:135]
	v_mul_f64 v[134:135], v[165:166], v[134:135]
	s_waitcnt vmcnt(1) lgkmcnt(1)
	v_mul_f64 v[195:196], v[175:176], v[138:139]
	v_mul_f64 v[138:139], v[173:174], v[138:139]
	s_waitcnt vmcnt(0) lgkmcnt(0)
	v_mul_f64 v[197:198], v[179:180], v[142:143]
	v_mul_f64 v[142:143], v[177:178], v[142:143]
	v_fma_f64 v[145:146], v[145:146], v[108:109], -v[181:182]
	v_fma_f64 v[147:148], v[147:148], v[108:109], v[110:111]
	v_fma_f64 v[108:109], v[161:162], v[112:113], -v[183:184]
	v_fma_f64 v[110:111], v[163:164], v[112:113], v[114:115]
	;; [unrolled: 2-line block ×9, first 2 shown]
	ds_write_b128 v225, v[145:148]
	ds_write_b128 v225, v[108:111] offset:528
	ds_write_b128 v225, v[112:115] offset:1056
	;; [unrolled: 1-line block ×8, first 2 shown]
	s_waitcnt lgkmcnt(0)
	s_barrier
	ds_read_b128 v[108:111], v225
	ds_read_b128 v[112:115], v225 offset:176
	ds_read_b128 v[116:119], v225 offset:1056
	;; [unrolled: 1-line block ×8, first 2 shown]
	s_waitcnt lgkmcnt(4)
	v_add_f64 v[147:148], v[124:125], v[116:117]
	v_add_f64 v[149:150], v[126:127], -v[118:119]
	v_add_f64 v[151:152], v[110:111], v[126:127]
	v_add_f64 v[126:127], v[126:127], v[118:119]
	;; [unrolled: 1-line block ×3, first 2 shown]
	v_add_f64 v[124:125], v[124:125], -v[116:117]
	s_waitcnt lgkmcnt(2)
	v_add_f64 v[155:156], v[132:133], v[120:121]
	v_add_f64 v[157:158], v[134:135], -v[122:123]
	v_add_f64 v[159:160], v[114:115], v[134:135]
	v_add_f64 v[134:135], v[134:135], v[122:123]
	s_waitcnt lgkmcnt(1)
	v_add_f64 v[161:162], v[128:129], v[136:137]
	s_waitcnt lgkmcnt(0)
	v_add_f64 v[163:164], v[136:137], v[140:141]
	v_add_f64 v[169:170], v[136:137], -v[140:141]
	v_fma_f64 v[136:137], v[147:148], -0.5, v[108:109]
	v_fma_f64 v[126:127], v[126:127], -0.5, v[110:111]
	v_add_f64 v[153:154], v[112:113], v[132:133]
	v_add_f64 v[116:117], v[145:146], v[116:117]
	;; [unrolled: 1-line block ×3, first 2 shown]
	v_fma_f64 v[145:146], v[155:156], -0.5, v[112:113]
	v_fma_f64 v[134:135], v[134:135], -0.5, v[114:115]
	v_add_f64 v[132:133], v[132:133], -v[120:121]
	v_fma_f64 v[112:113], v[149:150], s[0:1], v[136:137]
	v_fma_f64 v[114:115], v[124:125], s[4:5], v[126:127]
	v_add_f64 v[108:109], v[153:154], v[120:121]
	v_add_f64 v[110:111], v[159:160], v[122:123]
	v_fma_f64 v[120:121], v[149:150], s[4:5], v[136:137]
	v_fma_f64 v[122:123], v[124:125], s[0:1], v[126:127]
	s_barrier
	ds_write_b128 v222, v[116:119]
	ds_write_b128 v222, v[112:115] offset:16
	ds_write_b128 v222, v[120:123] offset:32
	buffer_load_dword v112, off, s[44:47], 0 ; 4-byte Folded Reload
	v_add_f64 v[165:166], v[138:139], -v[142:143]
	v_add_f64 v[167:168], v[130:131], v[138:139]
	v_add_f64 v[138:139], v[138:139], v[142:143]
	v_fma_f64 v[124:125], v[157:158], s[0:1], v[145:146]
	v_fma_f64 v[126:127], v[132:133], s[4:5], v[134:135]
	v_fma_f64 v[147:148], v[163:164], -0.5, v[128:129]
	v_fma_f64 v[128:129], v[157:158], s[4:5], v[145:146]
	v_fma_f64 v[151:152], v[138:139], -0.5, v[130:131]
	v_fma_f64 v[130:131], v[132:133], s[0:1], v[134:135]
	v_add_f64 v[132:133], v[161:162], v[140:141]
	v_add_f64 v[134:135], v[167:168], v[142:143]
	v_fma_f64 v[136:137], v[165:166], s[0:1], v[147:148]
	v_fma_f64 v[140:141], v[165:166], s[4:5], v[147:148]
	s_waitcnt vmcnt(0)
	ds_write_b128 v112, v[108:111]
	ds_write_b128 v112, v[124:127] offset:16
	ds_write_b128 v112, v[128:131] offset:32
	buffer_load_dword v108, off, s[44:47], 0 offset:4 ; 4-byte Folded Reload
	v_fma_f64 v[138:139], v[169:170], s[4:5], v[151:152]
	v_fma_f64 v[142:143], v[169:170], s[0:1], v[151:152]
	s_waitcnt vmcnt(0)
	ds_write_b128 v108, v[132:135]
	ds_write_b128 v108, v[136:139] offset:16
	ds_write_b128 v108, v[140:143] offset:32
	s_waitcnt lgkmcnt(0)
	s_barrier
	ds_read_b128 v[108:111], v225 offset:528
	ds_read_b128 v[112:115], v225
	ds_read_b128 v[116:119], v225 offset:176
	ds_read_b128 v[120:123], v225 offset:352
	;; [unrolled: 1-line block ×4, first 2 shown]
	s_waitcnt lgkmcnt(5)
	v_mul_f64 v[145:146], v[46:47], v[110:111]
	v_mul_f64 v[46:47], v[46:47], v[108:109]
	ds_read_b128 v[132:135], v225 offset:704
	ds_read_b128 v[136:139], v225 offset:880
	s_waitcnt lgkmcnt(3)
	v_mul_f64 v[147:148], v[38:39], v[126:127]
	v_mul_f64 v[38:39], v[38:39], v[124:125]
	ds_read_b128 v[140:143], v225 offset:1408
	s_waitcnt lgkmcnt(0)
	s_barrier
	v_fma_f64 v[108:109], v[44:45], v[108:109], v[145:146]
	v_mul_f64 v[145:146], v[62:63], v[134:135]
	v_fma_f64 v[44:45], v[44:45], v[110:111], -v[46:47]
	v_mul_f64 v[46:47], v[62:63], v[132:133]
	v_mul_f64 v[62:63], v[54:55], v[130:131]
	v_fma_f64 v[110:111], v[36:37], v[124:125], v[147:148]
	v_mul_f64 v[54:55], v[54:55], v[128:129]
	v_fma_f64 v[38:39], v[36:37], v[126:127], -v[38:39]
	v_mul_f64 v[36:37], v[66:67], v[138:139]
	v_fma_f64 v[124:125], v[60:61], v[132:133], v[145:146]
	v_mul_f64 v[66:67], v[66:67], v[136:137]
	v_fma_f64 v[126:127], v[60:61], v[134:135], -v[46:47]
	v_fma_f64 v[62:63], v[52:53], v[128:129], v[62:63]
	v_add_f64 v[46:47], v[108:109], v[110:111]
	v_fma_f64 v[128:129], v[52:53], v[130:131], -v[54:55]
	v_mul_f64 v[52:53], v[58:59], v[142:143]
	v_add_f64 v[54:55], v[44:45], v[38:39]
	v_fma_f64 v[130:131], v[64:65], v[136:137], v[36:37]
	v_mul_f64 v[36:37], v[58:59], v[140:141]
	v_fma_f64 v[58:59], v[64:65], v[138:139], -v[66:67]
	v_add_f64 v[60:61], v[112:113], v[108:109]
	v_fma_f64 v[46:47], v[46:47], -0.5, v[112:113]
	v_add_f64 v[64:65], v[44:45], -v[38:39]
	v_fma_f64 v[112:113], v[56:57], v[140:141], v[52:53]
	v_add_f64 v[52:53], v[124:125], v[62:63]
	v_fma_f64 v[54:55], v[54:55], -0.5, v[114:115]
	v_add_f64 v[66:67], v[108:109], -v[110:111]
	v_fma_f64 v[132:133], v[56:57], v[142:143], -v[36:37]
	v_add_f64 v[56:57], v[114:115], v[44:45]
	v_add_f64 v[36:37], v[60:61], v[110:111]
	v_fma_f64 v[44:45], v[64:65], s[0:1], v[46:47]
	v_add_f64 v[60:61], v[116:117], v[124:125]
	v_fma_f64 v[108:109], v[52:53], -0.5, v[116:117]
	v_add_f64 v[110:111], v[126:127], -v[128:129]
	v_fma_f64 v[52:53], v[64:65], s[4:5], v[46:47]
	v_fma_f64 v[46:47], v[66:67], s[4:5], v[54:55]
	v_add_f64 v[114:115], v[126:127], v[128:129]
	v_fma_f64 v[54:55], v[66:67], s[0:1], v[54:55]
	v_add_f64 v[66:67], v[130:131], v[112:113]
	v_add_f64 v[38:39], v[56:57], v[38:39]
	;; [unrolled: 1-line block ×3, first 2 shown]
	v_fma_f64 v[60:61], v[110:111], s[0:1], v[108:109]
	v_fma_f64 v[64:65], v[110:111], s[4:5], v[108:109]
	v_add_f64 v[108:109], v[58:59], v[132:133]
	v_add_f64 v[110:111], v[118:119], v[126:127]
	v_fma_f64 v[114:115], v[114:115], -0.5, v[118:119]
	v_add_f64 v[116:117], v[124:125], -v[62:63]
	v_add_f64 v[118:119], v[120:121], v[130:131]
	v_fma_f64 v[120:121], v[66:67], -0.5, v[120:121]
	v_add_f64 v[124:125], v[58:59], -v[132:133]
	;; [unrolled: 3-line block ×3, first 2 shown]
	v_fma_f64 v[62:63], v[116:117], s[4:5], v[114:115]
	v_fma_f64 v[66:67], v[116:117], s[0:1], v[114:115]
	v_add_f64 v[116:117], v[118:119], v[112:113]
	v_fma_f64 v[112:113], v[124:125], s[0:1], v[120:121]
	v_fma_f64 v[108:109], v[124:125], s[4:5], v[120:121]
	buffer_load_dword v120, off, s[44:47], 0 offset:8 ; 4-byte Folded Reload
	v_add_f64 v[58:59], v[110:111], v[128:129]
	v_add_f64 v[118:119], v[126:127], v[132:133]
	v_fma_f64 v[114:115], v[130:131], s[4:5], v[122:123]
	v_fma_f64 v[110:111], v[130:131], s[0:1], v[122:123]
	s_waitcnt vmcnt(0)
	ds_write_b128 v120, v[36:39]
	ds_write_b128 v120, v[44:47] offset:48
	ds_write_b128 v120, v[52:55] offset:96
	buffer_load_dword v120, off, s[44:47], 0 offset:12 ; 4-byte Folded Reload
	s_waitcnt vmcnt(0)
	ds_write_b128 v120, v[56:59]
	ds_write_b128 v120, v[60:63] offset:48
	ds_write_b128 v120, v[64:67] offset:96
	ds_write_b128 v226, v[116:119]
	ds_write_b128 v226, v[112:115] offset:48
	ds_write_b128 v226, v[108:111] offset:96
	s_waitcnt lgkmcnt(0)
	s_barrier
	s_and_saveexec_b64 s[0:1], vcc
	s_cbranch_execz .LBB0_7
; %bb.6:
	ds_read_b128 v[36:39], v225
	ds_read_b128 v[44:47], v225 offset:144
	ds_read_b128 v[52:55], v225 offset:288
	;; [unrolled: 1-line block ×10, first 2 shown]
.LBB0_7:
	s_or_b64 exec, exec, s[0:1]
	s_and_saveexec_b64 s[0:1], vcc
	s_cbranch_execz .LBB0_9
; %bb.8:
	s_waitcnt lgkmcnt(5)
	v_mul_f64 v[120:121], v[98:99], v[66:67]
	s_waitcnt lgkmcnt(4)
	v_mul_f64 v[122:123], v[94:95], v[118:119]
	v_mul_f64 v[98:99], v[98:99], v[64:65]
	;; [unrolled: 1-line block ×3, first 2 shown]
	s_waitcnt lgkmcnt(3)
	v_mul_f64 v[128:129], v[90:91], v[114:115]
	v_mul_f64 v[126:127], v[74:75], v[62:63]
	s_mov_b32 s20, 0xfd768dbf
	s_mov_b32 s21, 0xbfd207e7
	v_fma_f64 v[94:95], v[96:97], v[64:65], v[120:121]
	v_fma_f64 v[64:65], v[92:93], v[116:117], v[122:123]
	v_mul_f64 v[116:117], v[74:75], v[60:61]
	v_mul_f64 v[120:121], v[90:91], v[112:113]
	v_fma_f64 v[90:91], v[96:97], v[66:67], -v[98:99]
	v_fma_f64 v[66:67], v[88:89], v[112:113], v[128:129]
	v_fma_f64 v[74:75], v[92:93], v[118:119], -v[124:125]
	v_mul_f64 v[112:113], v[70:71], v[58:59]
	s_waitcnt lgkmcnt(2)
	v_mul_f64 v[118:119], v[86:87], v[110:111]
	v_mul_f64 v[86:87], v[86:87], v[108:109]
	v_fma_f64 v[98:99], v[72:73], v[62:63], -v[116:117]
	v_mul_f64 v[116:117], v[70:71], v[56:57]
	v_mul_f64 v[122:123], v[50:51], v[44:45]
	s_waitcnt lgkmcnt(0)
	v_mul_f64 v[124:125], v[82:83], v[104:105]
	v_fma_f64 v[96:97], v[72:73], v[60:61], v[126:127]
	v_fma_f64 v[112:113], v[68:69], v[56:57], v[112:113]
	;; [unrolled: 1-line block ×3, first 2 shown]
	v_mul_f64 v[118:119], v[82:83], v[106:107]
	s_mov_b32 s26, 0xf8bb580b
	v_fma_f64 v[68:69], v[68:69], v[58:59], -v[116:117]
	v_fma_f64 v[58:59], v[84:85], v[110:111], -v[86:87]
	v_mul_f64 v[86:87], v[42:43], v[54:55]
	v_mul_f64 v[116:117], v[50:51], v[46:47]
	;; [unrolled: 1-line block ×4, first 2 shown]
	s_mov_b32 s18, 0x9bcd5057
	s_mov_b32 s27, 0x3fe14ced
	;; [unrolled: 1-line block ×3, first 2 shown]
	v_fma_f64 v[72:73], v[88:89], v[114:115], -v[120:121]
	v_fma_f64 v[82:83], v[40:41], v[52:53], v[86:87]
	v_fma_f64 v[86:87], v[48:49], v[44:45], v[116:117]
	;; [unrolled: 1-line block ×3, first 2 shown]
	v_mul_f64 v[52:53], v[78:79], v[100:101]
	v_fma_f64 v[116:117], v[48:49], v[46:47], -v[122:123]
	v_fma_f64 v[46:47], v[80:81], v[106:107], -v[124:125]
	v_fma_f64 v[50:51], v[76:77], v[100:101], v[110:111]
	v_fma_f64 v[122:123], v[40:41], v[54:55], -v[42:43]
	v_add_f64 v[70:71], v[112:113], -v[62:63]
	v_add_f64 v[134:135], v[68:69], -v[58:59]
	;; [unrolled: 1-line block ×3, first 2 shown]
	v_fma_f64 v[48:49], v[76:77], v[102:103], -v[52:53]
	v_add_f64 v[130:131], v[86:87], v[44:45]
	v_add_f64 v[124:125], v[116:117], -v[46:47]
	v_add_f64 v[80:81], v[82:83], -v[50:51]
	v_add_f64 v[126:127], v[116:117], v[46:47]
	v_add_f64 v[136:137], v[82:83], v[50:51]
	s_mov_b32 s14, 0xbb3a28a1
	v_mul_f64 v[40:41], v[118:119], s[20:21]
	v_add_f64 v[128:129], v[122:123], -v[48:49]
	v_add_f64 v[132:133], v[122:123], v[48:49]
	v_mul_f64 v[52:53], v[124:125], s[20:21]
	v_mul_f64 v[42:43], v[80:81], s[26:27]
	s_mov_b32 s22, 0x8764f0ba
	s_mov_b32 s15, 0xbfe82f19
	;; [unrolled: 1-line block ×3, first 2 shown]
	v_fma_f64 v[54:55], v[126:127], s[18:19], v[40:41]
	v_mul_f64 v[76:77], v[128:129], s[26:27]
	v_add_f64 v[88:89], v[96:97], -v[66:67]
	v_fma_f64 v[78:79], v[130:131], s[18:19], -v[52:53]
	v_mul_f64 v[120:121], v[70:71], s[14:15]
	v_add_f64 v[84:85], v[68:69], v[58:59]
	v_fma_f64 v[100:101], v[132:133], s[22:23], v[42:43]
	v_add_f64 v[138:139], v[98:99], -v[72:73]
	v_add_f64 v[54:55], v[38:39], v[54:55]
	v_add_f64 v[140:141], v[112:113], v[62:63]
	v_mul_f64 v[102:103], v[134:135], s[14:15]
	v_fma_f64 v[104:105], v[136:137], s[22:23], -v[76:77]
	v_add_f64 v[78:79], v[36:37], v[78:79]
	v_fma_f64 v[40:41], v[126:127], s[18:19], -v[40:41]
	s_mov_b32 s16, 0x7f775887
	s_mov_b32 s7, 0x3fed1bb4
	;; [unrolled: 1-line block ×4, first 2 shown]
	v_mul_f64 v[108:109], v[88:89], s[6:7]
	v_add_f64 v[56:57], v[98:99], v[72:73]
	v_fma_f64 v[106:107], v[84:85], s[16:17], v[120:121]
	v_add_f64 v[54:55], v[100:101], v[54:55]
	v_add_f64 v[142:143], v[90:91], -v[74:75]
	v_add_f64 v[145:146], v[96:97], v[66:67]
	v_mul_f64 v[100:101], v[138:139], s[6:7]
	v_fma_f64 v[110:111], v[140:141], s[16:17], -v[102:103]
	v_add_f64 v[78:79], v[104:105], v[78:79]
	v_fma_f64 v[42:43], v[132:133], s[22:23], -v[42:43]
	v_add_f64 v[40:41], v[38:39], v[40:41]
	s_mov_b32 s4, 0x43842ef
	s_mov_b32 s12, 0xd9c712b6
	s_mov_b32 s5, 0xbfefac9e
	s_mov_b32 s13, 0x3fda9628
	v_add_f64 v[92:93], v[94:95], -v[64:65]
	v_fma_f64 v[104:105], v[56:57], s[12:13], v[108:109]
	v_add_f64 v[54:55], v[106:107], v[54:55]
	v_add_f64 v[147:148], v[94:95], v[64:65]
	v_mul_f64 v[106:107], v[142:143], s[4:5]
	v_fma_f64 v[149:150], v[145:146], s[12:13], -v[100:101]
	v_add_f64 v[78:79], v[110:111], v[78:79]
	v_fma_f64 v[110:111], v[84:85], s[16:17], -v[120:121]
	v_add_f64 v[40:41], v[42:43], v[40:41]
	s_mov_b32 s24, 0x640f44db
	s_mov_b32 s25, 0xbfc2375f
	v_add_f64 v[60:61], v[90:91], v[74:75]
	v_mul_f64 v[114:115], v[92:93], s[4:5]
	v_add_f64 v[54:55], v[104:105], v[54:55]
	v_fma_f64 v[104:105], v[147:148], s[24:25], -v[106:107]
	v_add_f64 v[78:79], v[149:150], v[78:79]
	v_fma_f64 v[108:109], v[56:57], s[12:13], -v[108:109]
	v_add_f64 v[110:111], v[110:111], v[40:41]
	v_fma_f64 v[52:53], v[130:131], s[18:19], v[52:53]
	s_mov_b32 s30, s4
	v_fma_f64 v[42:43], v[60:61], s[24:25], v[114:115]
	v_fma_f64 v[76:77], v[136:137], s[22:23], v[76:77]
	v_mul_f64 v[120:121], v[128:129], s[30:31]
	v_add_f64 v[40:41], v[104:105], v[78:79]
	v_fma_f64 v[104:105], v[147:148], s[24:25], v[106:107]
	v_add_f64 v[78:79], v[108:109], v[110:111]
	v_mul_f64 v[106:107], v[118:119], s[14:15]
	v_mul_f64 v[108:109], v[124:125], s[14:15]
	v_add_f64 v[42:43], v[42:43], v[54:55]
	v_fma_f64 v[54:55], v[60:61], s[24:25], -v[114:115]
	v_mul_f64 v[110:111], v[80:81], s[30:31]
	v_add_f64 v[52:53], v[36:37], v[52:53]
	s_mov_b32 s29, 0xbfe14ced
	s_mov_b32 s28, s26
	v_fma_f64 v[114:115], v[126:127], s[16:17], v[106:107]
	v_fma_f64 v[149:150], v[130:131], s[16:17], -v[108:109]
	v_fma_f64 v[102:103], v[140:141], s[16:17], v[102:103]
	v_mul_f64 v[151:152], v[70:71], s[28:29]
	v_fma_f64 v[153:154], v[132:133], s[24:25], v[110:111]
	v_add_f64 v[52:53], v[76:77], v[52:53]
	v_fma_f64 v[76:77], v[145:146], s[12:13], v[100:101]
	v_mul_f64 v[100:101], v[134:135], s[28:29]
	v_add_f64 v[114:115], v[38:39], v[114:115]
	v_fma_f64 v[155:156], v[136:137], s[24:25], -v[120:121]
	v_add_f64 v[149:150], v[36:37], v[149:150]
	v_mul_f64 v[157:158], v[88:89], s[20:21]
	v_fma_f64 v[159:160], v[84:85], s[22:23], v[151:152]
	v_add_f64 v[52:53], v[102:103], v[52:53]
	v_fma_f64 v[102:103], v[126:127], s[16:17], -v[106:107]
	v_mul_f64 v[106:107], v[138:139], s[20:21]
	v_add_f64 v[114:115], v[153:154], v[114:115]
	v_fma_f64 v[153:154], v[140:141], s[22:23], -v[100:101]
	v_add_f64 v[149:150], v[155:156], v[149:150]
	v_mul_f64 v[155:156], v[92:93], s[6:7]
	v_fma_f64 v[161:162], v[56:57], s[18:19], v[157:158]
	v_fma_f64 v[110:111], v[132:133], s[24:25], -v[110:111]
	v_add_f64 v[102:103], v[38:39], v[102:103]
	v_fma_f64 v[163:164], v[145:146], s[18:19], -v[106:107]
	v_add_f64 v[114:115], v[159:160], v[114:115]
	v_mul_f64 v[159:160], v[142:143], s[6:7]
	v_add_f64 v[149:150], v[153:154], v[149:150]
	v_fma_f64 v[108:109], v[130:131], s[16:17], v[108:109]
	v_add_f64 v[52:53], v[76:77], v[52:53]
	v_fma_f64 v[76:77], v[60:61], s[12:13], v[155:156]
	;; [unrolled: 2-line block ×3, first 2 shown]
	v_add_f64 v[110:111], v[161:162], v[114:115]
	v_fma_f64 v[114:115], v[147:148], s[12:13], -v[159:160]
	v_add_f64 v[149:150], v[163:164], v[149:150]
	v_add_f64 v[108:109], v[36:37], v[108:109]
	v_fma_f64 v[151:152], v[84:85], s[22:23], -v[151:152]
	v_add_f64 v[54:55], v[54:55], v[78:79]
	v_fma_f64 v[100:101], v[140:141], s[22:23], v[100:101]
	s_mov_b32 s35, 0x3fd207e7
	v_add_f64 v[78:79], v[76:77], v[110:111]
	v_mul_f64 v[110:111], v[118:119], s[4:5]
	v_add_f64 v[76:77], v[114:115], v[149:150]
	v_add_f64 v[108:109], v[120:121], v[108:109]
	v_mul_f64 v[114:115], v[124:125], s[4:5]
	s_mov_b32 s34, s20
	v_fma_f64 v[153:154], v[56:57], s[18:19], -v[157:158]
	v_add_f64 v[102:103], v[151:152], v[102:103]
	v_fma_f64 v[106:107], v[145:146], s[18:19], v[106:107]
	v_mul_f64 v[120:121], v[80:81], s[34:35]
	v_fma_f64 v[149:150], v[126:127], s[24:25], v[110:111]
	v_add_f64 v[100:101], v[100:101], v[108:109]
	v_mul_f64 v[108:109], v[128:129], s[34:35]
	v_fma_f64 v[151:152], v[130:131], s[24:25], -v[114:115]
	v_add_f64 v[52:53], v[104:105], v[52:53]
	v_fma_f64 v[104:105], v[60:61], s[12:13], -v[155:156]
	v_add_f64 v[102:103], v[153:154], v[102:103]
	v_mul_f64 v[153:154], v[70:71], s[6:7]
	v_fma_f64 v[155:156], v[132:133], s[18:19], v[120:121]
	v_add_f64 v[149:150], v[38:39], v[149:150]
	v_add_f64 v[100:101], v[106:107], v[100:101]
	v_mul_f64 v[157:158], v[134:135], s[6:7]
	v_fma_f64 v[106:107], v[126:127], s[24:25], -v[110:111]
	v_fma_f64 v[110:111], v[136:137], s[18:19], -v[108:109]
	v_add_f64 v[151:152], v[36:37], v[151:152]
	v_add_f64 v[102:103], v[104:105], v[102:103]
	v_fma_f64 v[104:105], v[147:148], s[12:13], v[159:160]
	v_mul_f64 v[159:160], v[88:89], s[28:29]
	v_fma_f64 v[161:162], v[84:85], s[12:13], v[153:154]
	v_add_f64 v[149:150], v[155:156], v[149:150]
	v_mul_f64 v[155:156], v[138:139], s[28:29]
	v_fma_f64 v[120:121], v[132:133], s[18:19], -v[120:121]
	v_add_f64 v[106:107], v[38:39], v[106:107]
	v_fma_f64 v[163:164], v[140:141], s[12:13], -v[157:158]
	v_add_f64 v[110:111], v[110:111], v[151:152]
	v_mul_f64 v[151:152], v[92:93], s[14:15]
	v_fma_f64 v[165:166], v[56:57], s[22:23], v[159:160]
	v_add_f64 v[149:150], v[161:162], v[149:150]
	v_mul_f64 v[161:162], v[142:143], s[14:15]
	v_fma_f64 v[153:154], v[84:85], s[12:13], -v[153:154]
	v_add_f64 v[106:107], v[120:121], v[106:107]
	v_fma_f64 v[120:121], v[145:146], s[22:23], -v[155:156]
	v_add_f64 v[110:111], v[163:164], v[110:111]
	v_fma_f64 v[114:115], v[130:131], s[24:25], v[114:115]
	v_add_f64 v[100:101], v[104:105], v[100:101]
	v_fma_f64 v[104:105], v[60:61], s[16:17], v[151:152]
	v_add_f64 v[149:150], v[165:166], v[149:150]
	v_fma_f64 v[159:160], v[56:57], s[22:23], -v[159:160]
	v_add_f64 v[106:107], v[153:154], v[106:107]
	v_fma_f64 v[153:154], v[147:148], s[16:17], -v[161:162]
	v_add_f64 v[110:111], v[120:121], v[110:111]
	v_fma_f64 v[108:109], v[136:137], s[18:19], v[108:109]
	v_add_f64 v[114:115], v[36:37], v[114:115]
	s_mov_b32 s7, 0xbfed1bb4
	v_fma_f64 v[120:121], v[60:61], s[16:17], -v[151:152]
	v_mul_f64 v[151:152], v[118:119], s[6:7]
	v_add_f64 v[159:160], v[159:160], v[106:107]
	v_add_f64 v[106:107], v[104:105], v[149:150]
	;; [unrolled: 1-line block ×3, first 2 shown]
	v_fma_f64 v[153:154], v[140:141], s[12:13], v[157:158]
	v_add_f64 v[108:109], v[108:109], v[114:115]
	v_mul_f64 v[149:150], v[124:125], s[6:7]
	v_fma_f64 v[114:115], v[145:146], s[22:23], v[155:156]
	v_add_f64 v[116:117], v[38:39], v[116:117]
	v_add_f64 v[86:87], v[36:37], v[86:87]
	v_mul_f64 v[157:158], v[80:81], s[14:15]
	v_add_f64 v[110:111], v[120:121], v[159:160]
	v_mul_f64 v[120:121], v[128:129], s[14:15]
	v_add_f64 v[108:109], v[153:154], v[108:109]
	v_fma_f64 v[155:156], v[130:131], s[12:13], -v[149:150]
	v_fma_f64 v[163:164], v[126:127], s[12:13], v[151:152]
	v_add_f64 v[116:117], v[116:117], v[122:123]
	v_add_f64 v[82:83], v[86:87], v[82:83]
	v_mul_f64 v[159:160], v[70:71], s[34:35]
	v_fma_f64 v[165:166], v[132:133], s[16:17], v[157:158]
	v_fma_f64 v[167:168], v[136:137], s[16:17], -v[120:121]
	v_add_f64 v[108:109], v[114:115], v[108:109]
	v_fma_f64 v[114:115], v[126:127], s[12:13], -v[151:152]
	v_add_f64 v[155:156], v[36:37], v[155:156]
	v_fma_f64 v[157:158], v[132:133], s[16:17], -v[157:158]
	v_add_f64 v[68:69], v[116:117], v[68:69]
	v_add_f64 v[82:83], v[82:83], v[112:113]
	v_add_f64 v[163:164], v[38:39], v[163:164]
	v_fma_f64 v[153:154], v[147:148], s[16:17], v[161:162]
	v_mul_f64 v[161:162], v[134:135], s[34:35]
	v_add_f64 v[114:115], v[38:39], v[114:115]
	v_fma_f64 v[171:172], v[84:85], s[18:19], v[159:160]
	v_add_f64 v[155:156], v[167:168], v[155:156]
	v_mul_f64 v[167:168], v[92:93], s[26:27]
	v_fma_f64 v[159:160], v[84:85], s[18:19], -v[159:160]
	v_fma_f64 v[149:150], v[130:131], s[12:13], v[149:150]
	v_mul_f64 v[118:119], v[118:119], s[28:29]
	v_add_f64 v[68:69], v[68:69], v[98:99]
	v_add_f64 v[114:115], v[157:158], v[114:115]
	;; [unrolled: 1-line block ×3, first 2 shown]
	v_mul_f64 v[169:170], v[88:89], s[30:31]
	v_add_f64 v[163:164], v[165:166], v[163:164]
	v_fma_f64 v[165:166], v[140:141], s[18:19], -v[161:162]
	v_mul_f64 v[98:99], v[124:125], s[28:29]
	v_add_f64 v[108:109], v[153:154], v[108:109]
	v_fma_f64 v[153:154], v[60:61], s[22:23], v[167:168]
	v_fma_f64 v[120:121], v[136:137], s[16:17], v[120:121]
	v_add_f64 v[149:150], v[36:37], v[149:150]
	v_add_f64 v[114:115], v[159:160], v[114:115]
	v_fma_f64 v[159:160], v[60:61], s[22:23], -v[167:168]
	v_mul_f64 v[80:81], v[80:81], s[6:7]
	v_fma_f64 v[167:168], v[126:127], s[22:23], v[118:119]
	v_fma_f64 v[118:119], v[126:127], s[22:23], -v[118:119]
	v_add_f64 v[68:69], v[68:69], v[90:91]
	v_add_f64 v[82:83], v[82:83], v[94:95]
	;; [unrolled: 1-line block ×3, first 2 shown]
	v_fma_f64 v[165:166], v[56:57], s[24:25], -v[169:170]
	v_mul_f64 v[90:91], v[128:129], s[6:7]
	v_fma_f64 v[94:95], v[130:131], s[22:23], v[98:99]
	v_add_f64 v[120:121], v[120:121], v[149:150]
	v_mul_f64 v[86:87], v[70:71], s[4:5]
	v_fma_f64 v[122:123], v[132:133], s[12:13], v[80:81]
	v_add_f64 v[149:150], v[38:39], v[167:168]
	v_fma_f64 v[98:99], v[130:131], s[22:23], -v[98:99]
	v_fma_f64 v[80:81], v[132:133], s[12:13], -v[80:81]
	v_add_f64 v[38:39], v[38:39], v[118:119]
	v_add_f64 v[68:69], v[68:69], v[74:75]
	;; [unrolled: 1-line block ×4, first 2 shown]
	v_mul_f64 v[124:125], v[134:135], s[4:5]
	v_fma_f64 v[74:75], v[136:137], s[12:13], v[90:91]
	v_add_f64 v[82:83], v[36:37], v[94:95]
	v_mul_f64 v[88:89], v[88:89], s[14:15]
	v_fma_f64 v[112:113], v[84:85], s[24:25], v[86:87]
	v_fma_f64 v[90:91], v[136:137], s[12:13], -v[90:91]
	v_add_f64 v[36:37], v[36:37], v[98:99]
	v_fma_f64 v[84:85], v[84:85], s[24:25], -v[86:87]
	v_add_f64 v[38:39], v[80:81], v[38:39]
	v_add_f64 v[68:69], v[68:69], v[72:73]
	;; [unrolled: 1-line block ×5, first 2 shown]
	v_mul_f64 v[122:123], v[138:139], s[14:15]
	v_fma_f64 v[66:67], v[140:141], s[24:25], v[124:125]
	v_add_f64 v[72:73], v[74:75], v[82:83]
	v_mul_f64 v[151:152], v[138:139], s[30:31]
	v_fma_f64 v[161:162], v[140:141], s[18:19], v[161:162]
	v_fma_f64 v[173:174], v[56:57], s[24:25], v[169:170]
	;; [unrolled: 1-line block ×3, first 2 shown]
	v_fma_f64 v[74:75], v[140:141], s[24:25], -v[124:125]
	v_add_f64 v[36:37], v[90:91], v[36:37]
	v_fma_f64 v[56:57], v[56:57], s[16:17], -v[88:89]
	v_add_f64 v[38:39], v[84:85], v[38:39]
	v_add_f64 v[58:59], v[68:69], v[58:59]
	;; [unrolled: 1-line block ×3, first 2 shown]
	v_mul_f64 v[92:93], v[92:93], s[20:21]
	v_add_f64 v[112:113], v[112:113], v[114:115]
	v_mul_f64 v[114:115], v[142:143], s[20:21]
	v_fma_f64 v[64:65], v[145:146], s[16:17], v[122:123]
	v_add_f64 v[66:67], v[66:67], v[72:73]
	v_add_f64 v[163:164], v[171:172], v[163:164]
	v_mul_f64 v[171:172], v[142:143], s[26:27]
	v_fma_f64 v[175:176], v[145:146], s[24:25], -v[151:152]
	v_fma_f64 v[151:152], v[145:146], s[24:25], v[151:152]
	v_add_f64 v[120:121], v[161:162], v[120:121]
	v_fma_f64 v[68:69], v[145:146], s[16:17], -v[122:123]
	v_add_f64 v[36:37], v[74:75], v[36:37]
	v_add_f64 v[56:57], v[56:57], v[38:39]
	;; [unrolled: 1-line block ×4, first 2 shown]
	v_fma_f64 v[72:73], v[60:61], s[18:19], -v[92:93]
	v_fma_f64 v[50:51], v[147:148], s[18:19], v[114:115]
	v_add_f64 v[58:59], v[64:65], v[66:67]
	v_fma_f64 v[116:117], v[147:148], s[22:23], v[171:172]
	v_add_f64 v[120:121], v[151:152], v[120:121]
	v_add_f64 v[66:67], v[68:69], v[36:37]
	;; [unrolled: 1-line block ×5, first 2 shown]
	v_fma_f64 v[163:164], v[147:148], s[22:23], -v[171:172]
	v_add_f64 v[155:156], v[175:176], v[155:156]
	v_fma_f64 v[60:61], v[60:61], s[18:19], v[92:93]
	v_add_f64 v[62:63], v[96:97], v[112:113]
	v_fma_f64 v[64:65], v[147:148], s[18:19], -v[114:115]
	v_add_f64 v[46:47], v[72:73], v[56:57]
	v_add_f64 v[44:45], v[50:51], v[58:59]
	;; [unrolled: 1-line block ×3, first 2 shown]
	ds_write_b128 v225, v[36:39]
	v_lshl_add_u32 v36, v255, 4, v221
	v_add_f64 v[50:51], v[153:154], v[157:158]
	v_add_f64 v[48:49], v[163:164], v[155:156]
	;; [unrolled: 1-line block ×4, first 2 shown]
	ds_write_b128 v36, v[44:47] offset:144
	ds_write_b128 v36, v[68:71] offset:288
	;; [unrolled: 1-line block ×10, first 2 shown]
.LBB0_9:
	s_or_b64 exec, exec, s[0:1]
	s_waitcnt lgkmcnt(0)
	s_barrier
	ds_read_b128 v[36:39], v225
	ds_read_b128 v[40:43], v225 offset:176
	v_mad_u64_u32 v[46:47], s[0:1], s10, v144, 0
	v_mad_u64_u32 v[48:49], s[0:1], s8, v255, 0
	s_waitcnt lgkmcnt(1)
	v_mul_f64 v[44:45], v[34:35], v[38:39]
	v_mul_f64 v[34:35], v[34:35], v[36:37]
	v_mov_b32_e32 v54, s3
	s_mul_hi_u32 s3, s8, 0x210
	v_fma_f64 v[36:37], v[32:33], v[36:37], v[44:45]
	v_mad_u64_u32 v[44:45], s[0:1], s11, v144, v[47:48]
	s_mov_b32 s0, 0xa052bf5b
	v_fma_f64 v[34:35], v[32:33], v[38:39], -v[34:35]
	s_mov_b32 s1, 0x3f84afd6
	v_mov_b32_e32 v38, v49
	v_mov_b32_e32 v47, v44
	v_mul_f64 v[32:33], v[36:37], s[0:1]
	v_mad_u64_u32 v[44:45], s[4:5], s9, v255, v[38:39]
	ds_read_b128 v[36:39], v225 offset:528
	v_lshlrev_b64 v[50:51], 4, v[46:47]
	v_mov_b32_e32 v49, v44
	ds_read_b128 v[44:47], v225 offset:352
	v_mul_f64 v[34:35], v[34:35], s[0:1]
	s_waitcnt lgkmcnt(1)
	v_mul_f64 v[52:53], v[2:3], v[38:39]
	v_mul_f64 v[2:3], v[2:3], v[36:37]
	v_add_co_u32_e32 v55, vcc, s2, v50
	v_addc_co_u32_e32 v54, vcc, v54, v51, vcc
	v_lshlrev_b64 v[48:49], 4, v[48:49]
	s_mul_i32 s2, s9, 0x210
	v_fma_f64 v[36:37], v[0:1], v[36:37], v[52:53]
	v_fma_f64 v[50:51], v[0:1], v[38:39], -v[2:3]
	ds_read_b128 v[0:3], v225 offset:1056
	v_add_co_u32_e32 v48, vcc, v55, v48
	v_addc_co_u32_e32 v49, vcc, v54, v49, vcc
	global_store_dwordx4 v[48:49], v[32:35], off
	s_add_i32 s4, s3, s2
	v_mul_f64 v[32:33], v[36:37], s[0:1]
	ds_read_b128 v[36:39], v225 offset:1232
	s_waitcnt lgkmcnt(1)
	v_mul_f64 v[52:53], v[6:7], v[2:3]
	v_mul_f64 v[6:7], v[6:7], v[0:1]
	;; [unrolled: 1-line block ×3, first 2 shown]
	s_mul_i32 s5, s8, 0x210
	v_mov_b32_e32 v50, s4
	v_fma_f64 v[0:1], v[4:5], v[0:1], v[52:53]
	v_fma_f64 v[2:3], v[4:5], v[2:3], -v[6:7]
	v_mul_f64 v[4:5], v[10:11], v[42:43]
	v_mul_f64 v[6:7], v[10:11], v[40:41]
	v_add_co_u32_e32 v10, vcc, s5, v48
	v_addc_co_u32_e32 v11, vcc, v49, v50, vcc
	global_store_dwordx4 v[10:11], v[32:35], off
	v_mov_b32_e32 v48, s4
	v_fma_f64 v[32:33], v[8:9], v[40:41], v[4:5]
	v_fma_f64 v[34:35], v[8:9], v[42:43], -v[6:7]
	ds_read_b128 v[4:7], v225 offset:704
	v_add_co_u32_e32 v40, vcc, s5, v10
	v_mul_f64 v[0:1], v[0:1], s[0:1]
	v_mul_f64 v[2:3], v[2:3], s[0:1]
	v_addc_co_u32_e32 v41, vcc, v11, v48, vcc
	ds_read_b128 v[8:11], v225 offset:880
	s_waitcnt lgkmcnt(1)
	v_mul_f64 v[42:43], v[26:27], v[6:7]
	v_mul_f64 v[26:27], v[26:27], v[4:5]
	global_store_dwordx4 v[40:41], v[0:3], off
	s_nop 0
	v_mul_f64 v[0:1], v[32:33], s[0:1]
	v_mul_f64 v[2:3], v[34:35], s[0:1]
	v_mov_b32_e32 v34, 0xfffffc90
	v_fma_f64 v[4:5], v[24:25], v[4:5], v[42:43]
	v_fma_f64 v[6:7], v[24:25], v[6:7], -v[26:27]
	v_mul_f64 v[24:25], v[22:23], v[38:39]
	v_mul_f64 v[22:23], v[22:23], v[36:37]
	v_mad_u64_u32 v[32:33], s[2:3], s8, v34, v[40:41]
	s_mul_i32 s2, s9, 0xfffffc90
	s_sub_i32 s6, s2, s8
	v_add_u32_e32 v33, s6, v33
	global_store_dwordx4 v[32:33], v[0:3], off
	v_mov_b32_e32 v26, s4
	v_mul_f64 v[0:1], v[4:5], s[0:1]
	v_mul_f64 v[2:3], v[6:7], s[0:1]
	v_fma_f64 v[4:5], v[20:21], v[36:37], v[24:25]
	v_fma_f64 v[6:7], v[20:21], v[38:39], -v[22:23]
	v_mul_f64 v[20:21], v[18:19], v[46:47]
	v_mul_f64 v[18:19], v[18:19], v[44:45]
	v_add_co_u32_e32 v22, vcc, s5, v32
	v_addc_co_u32_e32 v23, vcc, v33, v26, vcc
	global_store_dwordx4 v[22:23], v[0:3], off
	s_waitcnt lgkmcnt(0)
	v_mul_f64 v[24:25], v[14:15], v[8:9]
	v_mul_f64 v[0:1], v[4:5], s[0:1]
	;; [unrolled: 1-line block ×3, first 2 shown]
	ds_read_b128 v[4:7], v225 offset:1408
	v_fma_f64 v[20:21], v[16:17], v[44:45], v[20:21]
	v_fma_f64 v[16:17], v[16:17], v[46:47], -v[18:19]
	v_mul_f64 v[18:19], v[14:15], v[10:11]
	v_add_co_u32_e32 v22, vcc, s5, v22
	v_addc_co_u32_e32 v23, vcc, v23, v26, vcc
	s_waitcnt lgkmcnt(0)
	v_mul_f64 v[26:27], v[30:31], v[6:7]
	v_mul_f64 v[30:31], v[30:31], v[4:5]
	v_fma_f64 v[10:11], v[12:13], v[10:11], -v[24:25]
	v_fma_f64 v[8:9], v[12:13], v[8:9], v[18:19]
	v_mul_f64 v[14:15], v[20:21], s[0:1]
	v_mul_f64 v[16:17], v[16:17], s[0:1]
	global_store_dwordx4 v[22:23], v[0:3], off
	v_mad_u64_u32 v[12:13], s[2:3], s8, v34, v[22:23]
	v_fma_f64 v[4:5], v[28:29], v[4:5], v[26:27]
	v_fma_f64 v[6:7], v[28:29], v[6:7], -v[30:31]
	v_mul_f64 v[0:1], v[8:9], s[0:1]
	v_mul_f64 v[2:3], v[10:11], s[0:1]
	v_add_u32_e32 v13, s6, v13
	v_mov_b32_e32 v9, s4
	v_add_co_u32_e32 v8, vcc, s5, v12
	v_mul_f64 v[4:5], v[4:5], s[0:1]
	v_mul_f64 v[6:7], v[6:7], s[0:1]
	v_addc_co_u32_e32 v9, vcc, v13, v9, vcc
	global_store_dwordx4 v[12:13], v[14:17], off
	global_store_dwordx4 v[8:9], v[0:3], off
	s_nop 0
	v_mov_b32_e32 v1, s4
	v_add_co_u32_e32 v0, vcc, s5, v8
	v_addc_co_u32_e32 v1, vcc, v9, v1, vcc
	global_store_dwordx4 v[0:1], v[4:7], off
.LBB0_10:
	s_endpgm
	.section	.rodata,"a",@progbits
	.p2align	6, 0x0
	.amdhsa_kernel bluestein_single_back_len99_dim1_dp_op_CI_CI
		.amdhsa_group_segment_fixed_size 31680
		.amdhsa_private_segment_fixed_size 284
		.amdhsa_kernarg_size 104
		.amdhsa_user_sgpr_count 6
		.amdhsa_user_sgpr_private_segment_buffer 1
		.amdhsa_user_sgpr_dispatch_ptr 0
		.amdhsa_user_sgpr_queue_ptr 0
		.amdhsa_user_sgpr_kernarg_segment_ptr 1
		.amdhsa_user_sgpr_dispatch_id 0
		.amdhsa_user_sgpr_flat_scratch_init 0
		.amdhsa_user_sgpr_private_segment_size 0
		.amdhsa_uses_dynamic_stack 0
		.amdhsa_system_sgpr_private_segment_wavefront_offset 1
		.amdhsa_system_sgpr_workgroup_id_x 1
		.amdhsa_system_sgpr_workgroup_id_y 0
		.amdhsa_system_sgpr_workgroup_id_z 0
		.amdhsa_system_sgpr_workgroup_info 0
		.amdhsa_system_vgpr_workitem_id 0
		.amdhsa_next_free_vgpr 256
		.amdhsa_next_free_sgpr 48
		.amdhsa_reserve_vcc 1
		.amdhsa_reserve_flat_scratch 0
		.amdhsa_float_round_mode_32 0
		.amdhsa_float_round_mode_16_64 0
		.amdhsa_float_denorm_mode_32 3
		.amdhsa_float_denorm_mode_16_64 3
		.amdhsa_dx10_clamp 1
		.amdhsa_ieee_mode 1
		.amdhsa_fp16_overflow 0
		.amdhsa_exception_fp_ieee_invalid_op 0
		.amdhsa_exception_fp_denorm_src 0
		.amdhsa_exception_fp_ieee_div_zero 0
		.amdhsa_exception_fp_ieee_overflow 0
		.amdhsa_exception_fp_ieee_underflow 0
		.amdhsa_exception_fp_ieee_inexact 0
		.amdhsa_exception_int_div_zero 0
	.end_amdhsa_kernel
	.text
.Lfunc_end0:
	.size	bluestein_single_back_len99_dim1_dp_op_CI_CI, .Lfunc_end0-bluestein_single_back_len99_dim1_dp_op_CI_CI
                                        ; -- End function
	.section	.AMDGPU.csdata,"",@progbits
; Kernel info:
; codeLenInByte = 12928
; NumSgprs: 52
; NumVgprs: 256
; ScratchSize: 284
; MemoryBound: 0
; FloatMode: 240
; IeeeMode: 1
; LDSByteSize: 31680 bytes/workgroup (compile time only)
; SGPRBlocks: 6
; VGPRBlocks: 63
; NumSGPRsForWavesPerEU: 52
; NumVGPRsForWavesPerEU: 256
; Occupancy: 1
; WaveLimiterHint : 1
; COMPUTE_PGM_RSRC2:SCRATCH_EN: 1
; COMPUTE_PGM_RSRC2:USER_SGPR: 6
; COMPUTE_PGM_RSRC2:TRAP_HANDLER: 0
; COMPUTE_PGM_RSRC2:TGID_X_EN: 1
; COMPUTE_PGM_RSRC2:TGID_Y_EN: 0
; COMPUTE_PGM_RSRC2:TGID_Z_EN: 0
; COMPUTE_PGM_RSRC2:TIDIG_COMP_CNT: 0
	.type	__hip_cuid_56d6bf29a60bccaa,@object ; @__hip_cuid_56d6bf29a60bccaa
	.section	.bss,"aw",@nobits
	.globl	__hip_cuid_56d6bf29a60bccaa
__hip_cuid_56d6bf29a60bccaa:
	.byte	0                               ; 0x0
	.size	__hip_cuid_56d6bf29a60bccaa, 1

	.ident	"AMD clang version 19.0.0git (https://github.com/RadeonOpenCompute/llvm-project roc-6.4.0 25133 c7fe45cf4b819c5991fe208aaa96edf142730f1d)"
	.section	".note.GNU-stack","",@progbits
	.addrsig
	.addrsig_sym __hip_cuid_56d6bf29a60bccaa
	.amdgpu_metadata
---
amdhsa.kernels:
  - .args:
      - .actual_access:  read_only
        .address_space:  global
        .offset:         0
        .size:           8
        .value_kind:     global_buffer
      - .actual_access:  read_only
        .address_space:  global
        .offset:         8
        .size:           8
        .value_kind:     global_buffer
      - .actual_access:  read_only
        .address_space:  global
        .offset:         16
        .size:           8
        .value_kind:     global_buffer
      - .actual_access:  read_only
        .address_space:  global
        .offset:         24
        .size:           8
        .value_kind:     global_buffer
      - .actual_access:  read_only
        .address_space:  global
        .offset:         32
        .size:           8
        .value_kind:     global_buffer
      - .offset:         40
        .size:           8
        .value_kind:     by_value
      - .address_space:  global
        .offset:         48
        .size:           8
        .value_kind:     global_buffer
      - .address_space:  global
        .offset:         56
        .size:           8
        .value_kind:     global_buffer
      - .address_space:  global
        .offset:         64
        .size:           8
        .value_kind:     global_buffer
      - .address_space:  global
        .offset:         72
        .size:           8
        .value_kind:     global_buffer
      - .offset:         80
        .size:           4
        .value_kind:     by_value
      - .address_space:  global
        .offset:         88
        .size:           8
        .value_kind:     global_buffer
      - .address_space:  global
        .offset:         96
        .size:           8
        .value_kind:     global_buffer
    .group_segment_fixed_size: 31680
    .kernarg_segment_align: 8
    .kernarg_segment_size: 104
    .language:       OpenCL C
    .language_version:
      - 2
      - 0
    .max_flat_workgroup_size: 220
    .name:           bluestein_single_back_len99_dim1_dp_op_CI_CI
    .private_segment_fixed_size: 284
    .sgpr_count:     52
    .sgpr_spill_count: 0
    .symbol:         bluestein_single_back_len99_dim1_dp_op_CI_CI.kd
    .uniform_work_group_size: 1
    .uses_dynamic_stack: false
    .vgpr_count:     256
    .vgpr_spill_count: 70
    .wavefront_size: 64
amdhsa.target:   amdgcn-amd-amdhsa--gfx906
amdhsa.version:
  - 1
  - 2
...

	.end_amdgpu_metadata
